;; amdgpu-corpus repo=ROCm/rocFFT kind=compiled arch=gfx906 opt=O3
	.text
	.amdgcn_target "amdgcn-amd-amdhsa--gfx906"
	.amdhsa_code_object_version 6
	.protected	fft_rtc_fwd_len1530_factors_17_3_6_5_wgs_102_tpt_102_halfLds_half_op_CI_CI_unitstride_sbrr_dirReg ; -- Begin function fft_rtc_fwd_len1530_factors_17_3_6_5_wgs_102_tpt_102_halfLds_half_op_CI_CI_unitstride_sbrr_dirReg
	.globl	fft_rtc_fwd_len1530_factors_17_3_6_5_wgs_102_tpt_102_halfLds_half_op_CI_CI_unitstride_sbrr_dirReg
	.p2align	8
	.type	fft_rtc_fwd_len1530_factors_17_3_6_5_wgs_102_tpt_102_halfLds_half_op_CI_CI_unitstride_sbrr_dirReg,@function
fft_rtc_fwd_len1530_factors_17_3_6_5_wgs_102_tpt_102_halfLds_half_op_CI_CI_unitstride_sbrr_dirReg: ; @fft_rtc_fwd_len1530_factors_17_3_6_5_wgs_102_tpt_102_halfLds_half_op_CI_CI_unitstride_sbrr_dirReg
; %bb.0:
	s_load_dwordx4 s[8:11], s[4:5], 0x58
	s_load_dwordx4 s[12:15], s[4:5], 0x0
	;; [unrolled: 1-line block ×3, first 2 shown]
	v_mul_u32_u24_e32 v1, 0x283, v0
	v_add_u32_sdwa v5, s6, v1 dst_sel:DWORD dst_unused:UNUSED_PAD src0_sel:DWORD src1_sel:WORD_1
	v_mov_b32_e32 v3, 0
	s_waitcnt lgkmcnt(0)
	v_cmp_lt_u64_e64 s[0:1], s[14:15], 2
	v_mov_b32_e32 v1, 0
	v_mov_b32_e32 v6, v3
	s_and_b64 vcc, exec, s[0:1]
	v_mov_b32_e32 v2, 0
	s_cbranch_vccnz .LBB0_8
; %bb.1:
	s_load_dwordx2 s[0:1], s[4:5], 0x10
	s_add_u32 s2, s18, 8
	s_addc_u32 s3, s19, 0
	s_add_u32 s6, s16, 8
	v_mov_b32_e32 v1, 0
	s_addc_u32 s7, s17, 0
	v_mov_b32_e32 v2, 0
	s_waitcnt lgkmcnt(0)
	s_add_u32 s20, s0, 8
	v_mov_b32_e32 v9, v2
	s_addc_u32 s21, s1, 0
	s_mov_b64 s[22:23], 1
	v_mov_b32_e32 v8, v1
.LBB0_2:                                ; =>This Inner Loop Header: Depth=1
	s_load_dwordx2 s[24:25], s[20:21], 0x0
                                        ; implicit-def: $vgpr12_vgpr13
	s_waitcnt lgkmcnt(0)
	v_or_b32_e32 v4, s25, v6
	v_cmp_ne_u64_e32 vcc, 0, v[3:4]
	s_and_saveexec_b64 s[0:1], vcc
	s_xor_b64 s[26:27], exec, s[0:1]
	s_cbranch_execz .LBB0_4
; %bb.3:                                ;   in Loop: Header=BB0_2 Depth=1
	v_cvt_f32_u32_e32 v4, s24
	v_cvt_f32_u32_e32 v7, s25
	s_sub_u32 s0, 0, s24
	s_subb_u32 s1, 0, s25
	v_mac_f32_e32 v4, 0x4f800000, v7
	v_rcp_f32_e32 v4, v4
	v_mul_f32_e32 v4, 0x5f7ffffc, v4
	v_mul_f32_e32 v7, 0x2f800000, v4
	v_trunc_f32_e32 v7, v7
	v_mac_f32_e32 v4, 0xcf800000, v7
	v_cvt_u32_f32_e32 v7, v7
	v_cvt_u32_f32_e32 v4, v4
	v_mul_lo_u32 v10, s0, v7
	v_mul_hi_u32 v11, s0, v4
	v_mul_lo_u32 v13, s1, v4
	v_mul_lo_u32 v12, s0, v4
	v_add_u32_e32 v10, v11, v10
	v_add_u32_e32 v10, v10, v13
	v_mul_hi_u32 v11, v4, v12
	v_mul_lo_u32 v13, v4, v10
	v_mul_hi_u32 v15, v4, v10
	v_mul_hi_u32 v14, v7, v12
	v_mul_lo_u32 v12, v7, v12
	v_mul_hi_u32 v16, v7, v10
	v_add_co_u32_e32 v11, vcc, v11, v13
	v_addc_co_u32_e32 v13, vcc, 0, v15, vcc
	v_mul_lo_u32 v10, v7, v10
	v_add_co_u32_e32 v11, vcc, v11, v12
	v_addc_co_u32_e32 v11, vcc, v13, v14, vcc
	v_addc_co_u32_e32 v12, vcc, 0, v16, vcc
	v_add_co_u32_e32 v10, vcc, v11, v10
	v_addc_co_u32_e32 v11, vcc, 0, v12, vcc
	v_add_co_u32_e32 v4, vcc, v4, v10
	v_addc_co_u32_e32 v7, vcc, v7, v11, vcc
	v_mul_lo_u32 v10, s0, v7
	v_mul_hi_u32 v11, s0, v4
	v_mul_lo_u32 v12, s1, v4
	v_mul_lo_u32 v13, s0, v4
	v_add_u32_e32 v10, v11, v10
	v_add_u32_e32 v10, v10, v12
	v_mul_lo_u32 v14, v4, v10
	v_mul_hi_u32 v15, v4, v13
	v_mul_hi_u32 v16, v4, v10
	v_mul_hi_u32 v12, v7, v13
	v_mul_lo_u32 v13, v7, v13
	v_mul_hi_u32 v11, v7, v10
	v_add_co_u32_e32 v14, vcc, v15, v14
	v_addc_co_u32_e32 v15, vcc, 0, v16, vcc
	v_mul_lo_u32 v10, v7, v10
	v_add_co_u32_e32 v13, vcc, v14, v13
	v_addc_co_u32_e32 v12, vcc, v15, v12, vcc
	v_addc_co_u32_e32 v11, vcc, 0, v11, vcc
	v_add_co_u32_e32 v10, vcc, v12, v10
	v_addc_co_u32_e32 v11, vcc, 0, v11, vcc
	v_add_co_u32_e32 v4, vcc, v4, v10
	v_addc_co_u32_e32 v7, vcc, v7, v11, vcc
	v_mad_u64_u32 v[10:11], s[0:1], v5, v7, 0
	v_mul_hi_u32 v12, v5, v4
	v_add_co_u32_e32 v14, vcc, v12, v10
	v_addc_co_u32_e32 v15, vcc, 0, v11, vcc
	v_mad_u64_u32 v[10:11], s[0:1], v6, v4, 0
	v_mad_u64_u32 v[12:13], s[0:1], v6, v7, 0
	v_add_co_u32_e32 v4, vcc, v14, v10
	v_addc_co_u32_e32 v4, vcc, v15, v11, vcc
	v_addc_co_u32_e32 v7, vcc, 0, v13, vcc
	v_add_co_u32_e32 v4, vcc, v4, v12
	v_addc_co_u32_e32 v7, vcc, 0, v7, vcc
	v_mul_lo_u32 v12, s25, v4
	v_mul_lo_u32 v13, s24, v7
	v_mad_u64_u32 v[10:11], s[0:1], s24, v4, 0
	v_add3_u32 v11, v11, v13, v12
	v_sub_u32_e32 v12, v6, v11
	v_mov_b32_e32 v13, s25
	v_sub_co_u32_e32 v10, vcc, v5, v10
	v_subb_co_u32_e64 v12, s[0:1], v12, v13, vcc
	v_subrev_co_u32_e64 v13, s[0:1], s24, v10
	v_subbrev_co_u32_e64 v12, s[0:1], 0, v12, s[0:1]
	v_cmp_le_u32_e64 s[0:1], s25, v12
	v_cndmask_b32_e64 v14, 0, -1, s[0:1]
	v_cmp_le_u32_e64 s[0:1], s24, v13
	v_cndmask_b32_e64 v13, 0, -1, s[0:1]
	v_cmp_eq_u32_e64 s[0:1], s25, v12
	v_cndmask_b32_e64 v12, v14, v13, s[0:1]
	v_add_co_u32_e64 v14, s[0:1], 2, v4
	v_addc_co_u32_e64 v13, s[0:1], 0, v7, s[0:1]
	v_add_co_u32_e64 v15, s[0:1], 1, v4
	v_addc_co_u32_e64 v16, s[0:1], 0, v7, s[0:1]
	v_subb_co_u32_e32 v11, vcc, v6, v11, vcc
	v_cmp_ne_u32_e64 s[0:1], 0, v12
	v_cmp_le_u32_e32 vcc, s25, v11
	v_cndmask_b32_e64 v12, v16, v13, s[0:1]
	v_cndmask_b32_e64 v13, 0, -1, vcc
	v_cmp_le_u32_e32 vcc, s24, v10
	v_cndmask_b32_e64 v10, 0, -1, vcc
	v_cmp_eq_u32_e32 vcc, s25, v11
	v_cndmask_b32_e32 v10, v13, v10, vcc
	v_cmp_ne_u32_e32 vcc, 0, v10
	v_cndmask_b32_e32 v13, v7, v12, vcc
	v_cndmask_b32_e64 v7, v15, v14, s[0:1]
	v_cndmask_b32_e32 v12, v4, v7, vcc
.LBB0_4:                                ;   in Loop: Header=BB0_2 Depth=1
	s_andn2_saveexec_b64 s[0:1], s[26:27]
	s_cbranch_execz .LBB0_6
; %bb.5:                                ;   in Loop: Header=BB0_2 Depth=1
	v_cvt_f32_u32_e32 v4, s24
	s_sub_i32 s26, 0, s24
	v_mov_b32_e32 v13, v3
	v_rcp_iflag_f32_e32 v4, v4
	v_mul_f32_e32 v4, 0x4f7ffffe, v4
	v_cvt_u32_f32_e32 v4, v4
	v_mul_lo_u32 v7, s26, v4
	v_mul_hi_u32 v7, v4, v7
	v_add_u32_e32 v4, v4, v7
	v_mul_hi_u32 v4, v5, v4
	v_mul_lo_u32 v7, v4, s24
	v_add_u32_e32 v10, 1, v4
	v_sub_u32_e32 v7, v5, v7
	v_subrev_u32_e32 v11, s24, v7
	v_cmp_le_u32_e32 vcc, s24, v7
	v_cndmask_b32_e32 v7, v7, v11, vcc
	v_cndmask_b32_e32 v4, v4, v10, vcc
	v_add_u32_e32 v10, 1, v4
	v_cmp_le_u32_e32 vcc, s24, v7
	v_cndmask_b32_e32 v12, v4, v10, vcc
.LBB0_6:                                ;   in Loop: Header=BB0_2 Depth=1
	s_or_b64 exec, exec, s[0:1]
	v_mul_lo_u32 v4, v13, s24
	v_mul_lo_u32 v7, v12, s25
	v_mad_u64_u32 v[10:11], s[0:1], v12, s24, 0
	s_load_dwordx2 s[0:1], s[6:7], 0x0
	s_load_dwordx2 s[24:25], s[2:3], 0x0
	v_add3_u32 v4, v11, v7, v4
	v_sub_co_u32_e32 v5, vcc, v5, v10
	v_subb_co_u32_e32 v4, vcc, v6, v4, vcc
	s_waitcnt lgkmcnt(0)
	v_mul_lo_u32 v6, s0, v4
	v_mul_lo_u32 v7, s1, v5
	v_mad_u64_u32 v[1:2], s[0:1], s0, v5, v[1:2]
	v_mul_lo_u32 v4, s24, v4
	v_mul_lo_u32 v10, s25, v5
	v_mad_u64_u32 v[8:9], s[0:1], s24, v5, v[8:9]
	s_add_u32 s22, s22, 1
	s_addc_u32 s23, s23, 0
	s_add_u32 s2, s2, 8
	v_add3_u32 v9, v10, v9, v4
	s_addc_u32 s3, s3, 0
	v_mov_b32_e32 v4, s14
	s_add_u32 s6, s6, 8
	v_mov_b32_e32 v5, s15
	s_addc_u32 s7, s7, 0
	v_cmp_ge_u64_e32 vcc, s[22:23], v[4:5]
	s_add_u32 s20, s20, 8
	v_add3_u32 v2, v7, v2, v6
	s_addc_u32 s21, s21, 0
	s_cbranch_vccnz .LBB0_9
; %bb.7:                                ;   in Loop: Header=BB0_2 Depth=1
	v_mov_b32_e32 v5, v12
	v_mov_b32_e32 v6, v13
	s_branch .LBB0_2
.LBB0_8:
	v_mov_b32_e32 v9, v2
	v_mov_b32_e32 v13, v6
	;; [unrolled: 1-line block ×4, first 2 shown]
.LBB0_9:
	s_load_dwordx2 s[0:1], s[4:5], 0x28
	s_mov_b32 s4, 0x2828283
	v_mul_hi_u32 v3, v0, s4
	s_lshl_b64 s[2:3], s[14:15], 3
	s_add_u32 s4, s18, s2
	s_waitcnt lgkmcnt(0)
	v_cmp_gt_u64_e32 vcc, s[0:1], v[12:13]
	v_mul_u32_u24_e32 v3, 0x66, v3
	v_sub_u32_e32 v10, v0, v3
	s_movk_i32 s0, 0x5a
	v_cmp_gt_u32_e64 s[0:1], s0, v10
	s_addc_u32 s5, s19, s3
	s_and_b64 s[14:15], vcc, s[0:1]
	v_mov_b32_e32 v0, 0
	v_mov_b32_e32 v4, 0
                                        ; implicit-def: $vgpr24
                                        ; implicit-def: $vgpr7
                                        ; implicit-def: $vgpr25
                                        ; implicit-def: $vgpr19
                                        ; implicit-def: $vgpr26
                                        ; implicit-def: $vgpr20
                                        ; implicit-def: $vgpr27
                                        ; implicit-def: $vgpr21
                                        ; implicit-def: $vgpr28
                                        ; implicit-def: $vgpr22
                                        ; implicit-def: $vgpr29
                                        ; implicit-def: $vgpr23
                                        ; implicit-def: $vgpr30
                                        ; implicit-def: $vgpr31
                                        ; implicit-def: $vgpr11
                                        ; implicit-def: $vgpr32
                                        ; implicit-def: $vgpr5
                                        ; implicit-def: $vgpr39
                                        ; implicit-def: $vgpr6
                                        ; implicit-def: $vgpr38
                                        ; implicit-def: $vgpr14
                                        ; implicit-def: $vgpr37
                                        ; implicit-def: $vgpr15
                                        ; implicit-def: $vgpr36
                                        ; implicit-def: $vgpr16
                                        ; implicit-def: $vgpr35
                                        ; implicit-def: $vgpr17
                                        ; implicit-def: $vgpr34
                                        ; implicit-def: $vgpr18
                                        ; implicit-def: $vgpr33
                                        ; implicit-def: $vgpr40
	s_and_saveexec_b64 s[6:7], s[14:15]
	s_cbranch_execz .LBB0_11
; %bb.10:
	s_add_u32 s2, s16, s2
	s_addc_u32 s3, s17, s3
	s_load_dwordx2 s[2:3], s[2:3], 0x0
	v_mov_b32_e32 v6, s9
	v_mov_b32_e32 v11, 0
	s_waitcnt lgkmcnt(0)
	v_mul_lo_u32 v0, s3, v12
	v_mul_lo_u32 v5, s2, v13
	v_mad_u64_u32 v[3:4], s[2:3], s2, v12, 0
	v_add3_u32 v4, v4, v5, v0
	v_lshlrev_b64 v[3:4], 2, v[3:4]
	v_lshlrev_b64 v[0:1], 2, v[1:2]
	v_add_co_u32_e64 v3, s[2:3], s8, v3
	v_addc_co_u32_e64 v4, s[2:3], v6, v4, s[2:3]
	v_add_co_u32_e64 v2, s[2:3], v3, v0
	v_addc_co_u32_e64 v3, s[2:3], v4, v1, s[2:3]
	v_lshlrev_b64 v[0:1], 2, v[10:11]
	v_add_co_u32_e64 v2, s[2:3], v2, v0
	v_addc_co_u32_e64 v3, s[2:3], v3, v1, s[2:3]
	s_movk_i32 s2, 0x1000
	v_add_co_u32_e64 v4, s[2:3], s2, v2
	global_load_dword v0, v[2:3], off
	global_load_dword v7, v[2:3], off offset:360
	global_load_dword v19, v[2:3], off offset:720
	;; [unrolled: 1-line block ×8, first 2 shown]
	v_addc_co_u32_e64 v5, s[2:3], 0, v3, s[2:3]
	global_load_dword v33, v[2:3], off offset:3600
	global_load_dword v34, v[2:3], off offset:3960
	;; [unrolled: 1-line block ×8, first 2 shown]
	s_mov_b32 s2, 0x7060302
	s_waitcnt vmcnt(15)
	v_lshrrev_b32_e32 v24, 16, v7
	s_waitcnt vmcnt(14)
	v_lshrrev_b32_e32 v25, 16, v19
	;; [unrolled: 2-line block ×15, first 2 shown]
	s_waitcnt vmcnt(0)
	v_perm_b32 v4, v0, v40, s2
.LBB0_11:
	s_or_b64 exec, exec, s[6:7]
	v_add_f16_e32 v48, v7, v39
	s_mov_b32 s6, 0x3b7639e9
	v_sub_f16_e32 v47, v24, v5
	v_pk_mul_f16 v1, v48, s6 op_sel_hi:[0,1]
	s_mov_b32 s18, 0xb5c8b964
	v_pk_fma_f16 v2, v47, s18, v1 op_sel_hi:[0,1,1]
	s_mov_b32 s7, 0x39e92de8
	v_add_f16_e32 v50, v19, v38
	v_pk_add_f16 v3, v0, v2 op_sel_hi:[0,1]
	s_mov_b32 s19, 0xb964bbf7
	v_sub_f16_e32 v49, v25, v6
	v_pk_mul_f16 v2, v50, s7 op_sel_hi:[0,1]
	v_pk_fma_f16 v41, v49, s19, v2 op_sel_hi:[0,1,1]
	s_mov_b32 s8, 0x3722b8d2
	v_add_f16_e32 v52, v20, v37
	v_pk_add_f16 v3, v3, v41
	s_mov_b32 s20, 0xbb29ba62
	v_sub_f16_e32 v51, v26, v14
	v_pk_mul_f16 v41, v52, s8 op_sel_hi:[0,1]
	v_pk_fma_f16 v42, v51, s20, v41 op_sel_hi:[0,1,1]
	s_mov_b32 s9, 0x2de8bbdd
	v_add_f16_e32 v54, v21, v36
	v_pk_add_f16 v3, v3, v42
	;; [unrolled: 7-line block ×6, first 2 shown]
	s_mov_b32 s25, 0xb1e135c8
	v_sub_f16_e32 v61, v11, v4
	v_pk_mul_f16 v46, v62, s17 op_sel_hi:[0,1]
	v_pk_fma_f16 v63, v61, s25, v46 op_sel_hi:[0,1,1]
	v_pk_add_f16 v3, v3, v63
	s_and_saveexec_b64 s[2:3], s[0:1]
	s_cbranch_execz .LBB0_13
; %bb.12:
	s_mov_b32 s26, 0x5040100
	v_perm_b32 v64, v0, v0, s26
	v_add_f16_e32 v0, v0, v7
	v_add_f16_e32 v0, v0, v19
	;; [unrolled: 1-line block ×15, first 2 shown]
	v_pack_b32_f16 v63, v47, v47
	v_pk_mul_f16 v47, v47, s18 op_sel_hi:[0,1]
	v_add_f16_e32 v0, v39, v0
	v_mad_u32_u24 v88, v10, 34, 0
	v_pack_b32_f16 v65, v49, v49
	v_pk_mul_f16 v49, v49, s19 op_sel_hi:[0,1]
	ds_write_b16 v88, v0
	v_pk_add_f16 v0, v1, v47 neg_lo:[0,1] neg_hi:[0,1]
	v_pack_b32_f16 v66, v51, v51
	v_pk_mul_f16 v51, v51, s20 op_sel_hi:[0,1]
	v_pk_add_f16 v0, v64, v0
	v_pk_add_f16 v1, v2, v49 neg_lo:[0,1] neg_hi:[0,1]
	v_pack_b32_f16 v67, v53, v53
	v_pk_mul_f16 v53, v53, s21 op_sel_hi:[0,1]
	v_pk_add_f16 v0, v0, v1
	;; [unrolled: 4-line block ×6, first 2 shown]
	v_pk_add_f16 v1, v45, v59 neg_lo:[0,1] neg_hi:[0,1]
	v_pack_b32_f16 v48, v48, v48
	s_mov_b32 s26, 0xbbddbacd
	s_mov_b32 s43, 0x2de83722
	v_pk_add_f16 v0, v0, v1
	v_pk_add_f16 v1, v46, v61 neg_lo:[0,1] neg_hi:[0,1]
	v_pack_b32_f16 v50, v50, v50
	v_pk_mul_f16 v72, v48, s26
	s_mov_b32 s27, 0x3b763722
	v_pk_mul_f16 v80, v48, s15
	v_pk_mul_f16 v48, v48, s43
	s_mov_b32 s43, 0xbbf7bb29
	s_mov_b32 s44, 0xbbddb8d2
	v_pk_add_f16 v0, v0, v1
	v_pack_b32_f16 v52, v52, v52
	v_pk_mul_f16 v73, v50, s27
	s_mov_b32 s28, 0xbacd2de8
	v_pk_mul_f16 v81, v50, s14
	v_pk_mul_f16 v50, v50, s44
	s_mov_b32 s44, 0xb1e1ba62
	s_mov_b32 s45, 0xb461bbdd
	v_alignbit_b32 v41, v0, v0, 16
	v_pk_fma_f16 v0, v63, s43, v48 neg_lo:[1,0,0] neg_hi:[1,0,0]
	v_pack_b32_f16 v54, v54, v54
	v_pk_mul_f16 v74, v52, s28
	s_mov_b32 s29, 0x39e9b8d2
	v_pk_mul_f16 v82, v52, s6
	v_pk_mul_f16 v52, v52, s45
	s_mov_b32 s45, 0x3bb231e1
	s_mov_b32 s46, 0x3b76b461
	v_pk_add_f16 v0, v64, v0
	v_pk_fma_f16 v1, v65, s44, v50 neg_lo:[1,0,0] neg_hi:[1,0,0]
	v_pack_b32_f16 v56, v56, v56
	v_pk_mul_f16 v75, v54, s29
	s_mov_b32 s30, 0xb8d23b76
	v_pk_mul_f16 v83, v54, s16
	v_pk_mul_f16 v54, v54, s46
	s_mov_b32 s46, 0x35c83bb2
	s_mov_b32 s47, 0x372239e9
	v_pk_add_f16 v0, v0, v1
	;; [unrolled: 9-line block ×5, first 2 shown]
	v_pk_fma_f16 v1, v69, s48, v58 neg_lo:[1,0,0] neg_hi:[1,0,0]
	v_pk_mul_f16 v79, v62, s34
	v_pk_mul_f16 v87, v62, s8
	;; [unrolled: 1-line block ×3, first 2 shown]
	s_mov_b32 s50, 0x3964b836
	v_pk_add_f16 v0, v0, v1
	v_pk_fma_f16 v1, v70, s49, v60 neg_lo:[1,0,0] neg_hi:[1,0,0]
	s_mov_b32 s35, 0xba62bbb2
	v_pk_add_f16 v0, v0, v1
	v_pk_fma_f16 v1, v71, s50, v62 neg_lo:[1,0,0] neg_hi:[1,0,0]
	;; [unrolled: 3-line block ×17, first 2 shown]
	v_pk_add_f16 v0, v0, v1
	v_pk_fma_f16 v1, v71, s34, v79 neg_lo:[1,0,0] neg_hi:[1,0,0]
	v_pk_add_f16 v44, v0, v1
	v_pk_fma_f16 v0, v63, s26, v72
	v_pk_add_f16 v0, v64, v0
	v_pk_fma_f16 v1, v65, s27, v73
	v_pk_add_f16 v0, v0, v1
	v_pk_fma_f16 v1, v66, s28, v74
	v_pk_add_f16 v0, v0, v1
	v_pk_fma_f16 v1, v67, s29, v75
	v_pk_add_f16 v0, v0, v1
	v_pk_fma_f16 v1, v68, s30, v76
	v_pk_add_f16 v0, v0, v1
	v_pk_fma_f16 v1, v69, s31, v77
	v_pk_add_f16 v0, v0, v1
	v_pk_fma_f16 v1, v70, s33, v78
	v_pk_add_f16 v0, v0, v1
	v_pk_fma_f16 v1, v71, s34, v79
	v_pk_add_f16 v0, v0, v1
	v_pk_fma_f16 v1, v63, s35, v80
	v_pk_add_f16 v1, v64, v1
	v_pk_fma_f16 v2, v65, s36, v81
	v_pk_add_f16 v1, v1, v2
	v_pk_fma_f16 v2, v66, s37, v82
	v_pk_add_f16 v1, v1, v2
	v_pk_fma_f16 v2, v67, s38, v83
	v_pk_add_f16 v1, v1, v2
	v_pk_fma_f16 v2, v68, s39, v84
	v_pk_add_f16 v1, v1, v2
	v_pk_fma_f16 v2, v69, s40, v85
	v_pk_add_f16 v1, v1, v2
	v_pk_fma_f16 v2, v70, s41, v86
	v_pk_add_f16 v1, v1, v2
	v_pk_fma_f16 v2, v71, s42, v87
	v_pk_add_f16 v1, v1, v2
	v_pk_fma_f16 v2, v63, s43, v48
	ds_write_b128 v88, v[41:44] offset:2
	v_pk_add_f16 v2, v64, v2
	v_pk_fma_f16 v41, v65, s44, v50
	v_pk_add_f16 v2, v2, v41
	v_pk_fma_f16 v41, v66, s45, v52
	;; [unrolled: 2-line block ×7, first 2 shown]
	v_pk_add_f16 v2, v2, v41
	v_alignbit_b32 v0, v0, v0, 16
	v_alignbit_b32 v1, v1, v1, 16
	;; [unrolled: 1-line block ×3, first 2 shown]
	ds_write_b128 v88, v[0:3] offset:18
.LBB0_13:
	s_or_b64 exec, exec, s[2:3]
	v_sub_f16_e32 v62, v7, v39
	v_add_f16_e32 v61, v24, v5
	v_sub_f16_e32 v60, v19, v38
	v_pk_mul_f16 v48, v62, s18 op_sel_hi:[0,1]
	v_add_f16_e32 v59, v25, v6
	v_sub_f16_e32 v58, v20, v37
	v_pk_fma_f16 v0, v61, s6, v48 op_sel_hi:[0,1,1] neg_lo:[0,0,1] neg_hi:[0,0,1]
	v_pk_mul_f16 v47, v60, s19 op_sel_hi:[0,1]
	v_add_f16_e32 v57, v26, v14
	v_sub_f16_e32 v56, v21, v36
	v_pk_add_f16 v0, v4, v0 op_sel:[1,0]
	v_pk_fma_f16 v7, v59, s7, v47 op_sel_hi:[0,1,1] neg_lo:[0,0,1] neg_hi:[0,0,1]
	v_pk_mul_f16 v46, v58, s20 op_sel_hi:[0,1]
	v_add_f16_e32 v55, v27, v15
	v_sub_f16_e32 v54, v22, v35
	v_pk_add_f16 v0, v0, v7
	v_pk_fma_f16 v7, v57, s8, v46 op_sel_hi:[0,1,1] neg_lo:[0,0,1] neg_hi:[0,0,1]
	v_pk_mul_f16 v45, v56, s21 op_sel_hi:[0,1]
	v_add_f16_e32 v53, v28, v16
	v_sub_f16_e32 v52, v23, v34
	v_pk_add_f16 v0, v0, v7
	;; [unrolled: 5-line block ×3, first 2 shown]
	v_pk_fma_f16 v7, v53, s14, v44 op_sel_hi:[0,1,1] neg_lo:[0,0,1] neg_hi:[0,0,1]
	v_pk_mul_f16 v43, v52, s23 op_sel_hi:[0,1]
	v_add_f16_e32 v49, v30, v18
	v_pk_add_f16 v0, v0, v7
	v_pk_fma_f16 v7, v51, s15, v43 op_sel_hi:[0,1,1] neg_lo:[0,0,1] neg_hi:[0,0,1]
	v_pk_mul_f16 v42, v50, s24 op_sel_hi:[0,1]
	v_pk_add_f16 v0, v0, v7
	v_pk_fma_f16 v7, v49, s16, v42 op_sel_hi:[0,1,1] neg_lo:[0,0,1] neg_hi:[0,0,1]
	v_pk_add_f16 v7, v0, v7
	v_lshl_add_u32 v0, v10, 1, 0
	v_sub_f16_e32 v2, v32, v40
	s_waitcnt lgkmcnt(0)
	s_barrier
	ds_read_u16 v33, v0 offset:1224
	ds_read_u16 v32, v0 offset:1428
	ds_read_u16 v23, v0
	ds_read_u16 v22, v0 offset:204
	ds_read_u16 v21, v0 offset:408
	;; [unrolled: 1-line block ×12, first 2 shown]
	v_add_f16_e32 v1, v11, v4
	v_pk_mul_f16 v41, v2, s25 op_sel_hi:[0,1]
	v_pk_fma_f16 v63, v1, s17, v41 op_sel_hi:[0,1,1] neg_lo:[0,0,1] neg_hi:[0,0,1]
	v_pk_add_f16 v7, v7, v63
	s_waitcnt lgkmcnt(0)
	s_barrier
	s_and_saveexec_b64 s[2:3], s[0:1]
	s_cbranch_execz .LBB0_15
; %bb.14:
	v_add_f16_sdwa v24, v4, v24 dst_sel:DWORD dst_unused:UNUSED_PAD src0_sel:WORD_1 src1_sel:DWORD
	v_add_f16_e32 v24, v24, v25
	v_add_f16_e32 v24, v24, v26
	;; [unrolled: 1-line block ×4, first 2 shown]
	s_mov_b32 s1, 0xbbdd
	v_mul_f16_e32 v28, 0xb1e1, v62
	v_pack_b32_f16 v63, v61, v61
	v_pk_mul_f16 v64, v61, s6 op_sel_hi:[0,1]
	v_pack_b32_f16 v69, v60, v60
	v_add_f16_e32 v24, v24, v29
	v_mul_f16_e32 v25, 0x3722, v61
	v_mul_f16_e32 v27, 0xbbdd, v61
	v_fma_f16 v29, v61, s1, v28
	v_mul_f16_e32 v61, 0xba62, v60
	s_movk_i32 s6, 0x3b76
	v_mul_f16_e32 v60, 0x35c8, v60
	v_pack_b32_f16 v65, v62, v62
	v_pack_b32_f16 v67, v59, v59
	v_pk_mul_f16 v68, v59, s7 op_sel_hi:[0,1]
	v_pack_b32_f16 v72, v58, v58
	v_add_f16_e32 v24, v24, v30
	v_mul_f16_e32 v26, 0xbb29, v62
	v_add_f16_sdwa v29, v4, v29 dst_sel:DWORD dst_unused:UNUSED_PAD src0_sel:WORD_1 src1_sel:DWORD
	v_mul_f16_e32 v30, 0xb8d2, v59
	v_mul_f16_e32 v62, 0x3b76, v59
	v_fma_f16 v59, v59, s6, v60
	v_mul_f16_e32 v88, 0x31e1, v58
	s_mov_b32 s6, 0xbacd
	v_mul_f16_e32 v58, 0xb836, v58
	v_pack_b32_f16 v70, v57, v57
	v_pk_mul_f16 v71, v57, s8 op_sel_hi:[0,1]
	v_pack_b32_f16 v75, v56, v56
	v_add_f16_e32 v29, v29, v59
	v_mul_f16_e32 v59, 0xbbdd, v57
	v_mul_f16_e32 v89, 0xbacd, v57
	v_fma_f16 v57, v57, s6, v58
	v_mul_f16_e32 v90, 0x3bb2, v56
	s_movk_i32 s7, 0x39e9
	v_mul_f16_e32 v56, 0x3964, v56
	s_mov_b32 s0, 0x7060302
	v_pack_b32_f16 v73, v55, v55
	v_pk_mul_f16 v74, v55, s9 op_sel_hi:[0,1]
	v_pack_b32_f16 v78, v54, v54
	s_mov_b32 s1, 0xb8d2
	v_add_f16_e32 v29, v29, v57
	v_mul_f16_e32 v57, 0xb461, v55
	v_mul_f16_e32 v91, 0x39e9, v55
	v_fma_f16 v55, v55, s7, v56
	v_mul_f16_e32 v92, 0x3964, v54
	v_mul_f16_e32 v54, 0xba62, v54
	v_perm_b32 v66, v4, v4, s0
	v_pack_b32_f16 v76, v53, v53
	v_pk_mul_f16 v77, v53, s14 op_sel_hi:[0,1]
	v_pack_b32_f16 v81, v52, v52
	s_movk_i32 s0, 0x3722
	v_add_f16_e32 v29, v29, v55
	v_mul_f16_e32 v55, 0x39e9, v53
	v_mul_f16_e32 v93, 0xb8d2, v53
	v_fma_f16 v53, v53, s1, v54
	v_mul_f16_e32 v94, 0xb5c8, v52
	v_mul_f16_e32 v52, 0x3b29, v52
	v_pack_b32_f16 v79, v51, v51
	v_pk_mul_f16 v80, v51, s15 op_sel_hi:[0,1]
	v_pack_b32_f16 v84, v50, v50
	s_mov_b32 s6, 0xb461
	v_add_f16_e32 v29, v29, v53
	v_mul_f16_e32 v53, 0x3b76, v51
	v_mul_f16_e32 v95, 0x3722, v51
	v_fma_f16 v51, v51, s0, v52
	v_mul_f16_e32 v96, 0xbbf7, v50
	v_mul_f16_e32 v50, 0xbbb2, v50
	s_mov_b32 s0, 0xffff
	v_pack_b32_f16 v82, v49, v49
	v_pk_mul_f16 v83, v49, s16 op_sel_hi:[0,1]
	v_add_f16_e32 v29, v29, v51
	v_mul_f16_e32 v51, 0x2de8, v49
	v_mul_f16_e32 v97, 0xb461, v49
	v_fma_f16 v49, v49, s6, v50
	v_bfi_b32 v24, s0, v24, v64
	v_bfi_b32 v11, s0, v11, v48
	v_add_f16_e32 v29, v29, v49
	v_pk_add_f16 v49, v68, v47
	v_pk_add_f16 v11, v24, v11
	;; [unrolled: 1-line block ×4, first 2 shown]
	v_bfi_b32 v11, s0, v18, v49
	v_pk_add_f16 v99, v74, v45
	v_pk_add_f16 v4, v11, v4
	v_bfi_b32 v11, s0, v17, v98
	v_pk_add_f16 v100, v77, v44
	v_pk_add_f16 v4, v11, v4
	;; [unrolled: 3-line block ×4, first 2 shown]
	v_bfi_b32 v11, s0, v14, v101
	v_pk_mul_f16 v86, v1, s17 op_sel_hi:[0,1]
	v_pk_add_f16 v4, v11, v4
	v_bfi_b32 v6, s0, v6, v102
	v_pk_add_f16 v4, v6, v4
	v_pk_add_f16 v6, v86, v41
	s_mov_b32 s6, 0x5040100
	v_bfi_b32 v5, s0, v5, v6
	v_perm_b32 v6, v25, v64, s6
	v_perm_b32 v11, v26, v48, s6
	v_pk_add_f16 v6, v6, v11
	v_perm_b32 v11, v30, v68, s6
	v_perm_b32 v15, v61, v47, s6
	v_pk_add_f16 v6, v66, v6
	v_pk_add_f16 v11, v11, v15
	;; [unrolled: 1-line block ×3, first 2 shown]
	v_perm_b32 v11, v59, v71, s6
	v_perm_b32 v15, v88, v46, s6
	v_pk_add_f16 v11, v11, v15
	v_pk_add_f16 v6, v6, v11
	v_perm_b32 v11, v57, v74, s6
	v_perm_b32 v15, v90, v45, s6
	v_pk_add_f16 v11, v11, v15
	v_pk_add_f16 v6, v6, v11
	;; [unrolled: 4-line block ×4, first 2 shown]
	v_perm_b32 v11, v51, v83, s6
	v_perm_b32 v15, v96, v42, s6
	v_pk_add_f16 v14, v5, v4
	v_mul_f16_e32 v4, 0xbacd, v1
	v_mul_f16_e32 v5, 0xb836, v2
	v_pk_add_f16 v11, v11, v15
	v_pk_add_f16 v6, v6, v11
	v_perm_b32 v11, v4, v86, s6
	v_perm_b32 v15, v5, v41, s6
	v_pk_add_f16 v11, v11, v15
	s_mov_b32 s7, 0xbbb2bbf7
	v_pk_add_f16 v15, v6, v11
	s_mov_b32 s6, 0xb4612de8
	v_pk_mul_f16 v11, v65, s7
	v_pk_mul_f16 v6, v63, s6
	v_pk_fma_f16 v16, v63, s6, v11
	s_mov_b32 s6, 0xbacdbbdd
	s_mov_b32 s7, 0x3836b1e1
	v_pk_mul_f16 v17, v67, s6
	v_pk_mul_f16 v18, v69, s7
	v_pack_b32_f16 v6, v6, v25
	v_pack_b32_f16 v11, v11, v26
	v_pk_add_f16 v16, v66, v16
	v_pk_fma_f16 v24, v67, s6, v18
	s_mov_b32 s6, 0x39e9b461
	s_mov_b32 s7, 0x39643bb2
	v_pk_add_f16 v6, v6, v11 neg_lo:[0,1] neg_hi:[0,1]
	v_pack_b32_f16 v11, v17, v30
	v_pack_b32_f16 v17, v18, v61
	v_pk_add_f16 v16, v16, v24
	v_pk_mul_f16 v24, v70, s6
	v_pk_mul_f16 v41, v72, s7
	v_pk_add_f16 v6, v66, v6
	v_pk_add_f16 v11, v11, v17 neg_lo:[0,1] neg_hi:[0,1]
	v_pk_fma_f16 v42, v70, s6, v41
	s_mov_b32 s6, 0x37223b76
	s_mov_b32 s7, 0xbb2935c8
	v_pk_add_f16 v6, v6, v11
	v_pack_b32_f16 v11, v24, v59
	v_pack_b32_f16 v17, v41, v88
	v_pk_add_f16 v16, v16, v42
	v_pk_mul_f16 v42, v73, s6
	v_pk_mul_f16 v43, v75, s7
	v_pk_add_f16 v11, v11, v17 neg_lo:[0,1] neg_hi:[0,1]
	v_pk_fma_f16 v44, v73, s6, v43
	s_mov_b32 s6, 0xbbdd3722
	s_mov_b32 s7, 0xb1e1bb29
	v_pk_add_f16 v6, v6, v11
	v_pack_b32_f16 v11, v42, v57
	v_pack_b32_f16 v17, v43, v90
	v_pk_add_f16 v16, v16, v44
	v_pk_mul_f16 v44, v76, s6
	v_pk_mul_f16 v45, v78, s7
	;; [unrolled: 10-line block ×3, first 2 shown]
	s_mov_b32 s7, 0xb5c83a62
	v_pk_add_f16 v11, v11, v17 neg_lo:[0,1] neg_hi:[0,1]
	v_pk_fma_f16 v48, v79, s6, v47
	s_mov_b32 s6, 0x3b76b8d2
	v_pk_mul_f16 v49, v84, s7
	v_pk_add_f16 v6, v6, v11
	v_pack_b32_f16 v11, v46, v53
	v_pack_b32_f16 v17, v47, v94
	;; [unrolled: 1-line block ×4, first 2 shown]
	v_pk_add_f16 v16, v16, v48
	v_pk_mul_f16 v48, v82, s6
	v_pk_fma_f16 v64, v82, s6, v49
	s_mov_b32 s6, 0xb8d239e9
	s_mov_b32 s7, 0xba623964
	v_pk_add_f16 v11, v11, v17 neg_lo:[0,1] neg_hi:[0,1]
	v_pk_add_f16 v16, v16, v64
	v_pk_mul_f16 v64, v85, s6
	v_pk_mul_f16 v68, v87, s7
	v_pk_add_f16 v6, v6, v11
	v_pack_b32_f16 v11, v48, v51
	v_pack_b32_f16 v17, v49, v96
	v_pk_add_f16 v11, v11, v17 neg_lo:[0,1] neg_hi:[0,1]
	v_pack_b32_f16 v4, v64, v4
	v_pack_b32_f16 v5, v68, v5
	s_mov_b32 s7, 0xb836ba62
	v_pk_fma_f16 v71, v85, s6, v68
	v_pk_add_f16 v6, v6, v11
	v_pk_add_f16 v4, v4, v5 neg_lo:[0,1] neg_hi:[0,1]
	s_mov_b32 s6, 0xbacdb8d2
	v_pk_mul_f16 v11, v65, s7
	s_mov_b32 s7, 0x3b293bb2
	v_pk_add_f16 v6, v6, v4
	v_pk_mul_f16 v4, v63, s6
	v_pk_fma_f16 v5, v63, s6, v11
	s_mov_b32 s6, 0x3722b461
	v_pk_mul_f16 v24, v69, s7
	s_mov_b32 s7, 0xbbf7b5c8
	v_pk_add_f16 v5, v66, v5
	v_pk_mul_f16 v18, v67, s6
	v_pk_fma_f16 v17, v67, s6, v24
	;; [unrolled: 6-line block ×7, first 2 shown]
	s_mov_b32 s6, 0xb4613722
	v_pk_mul_f16 v49, v87, s7
	s_mov_b32 s7, 0x3bb23a62
	v_bfi_b32 v4, s0, v27, v4
	v_bfi_b32 v11, s0, v28, v11
	v_pk_add_f16 v17, v5, v17
	v_pk_mul_f16 v48, v85, s6
	v_pk_fma_f16 v51, v85, s6, v49
	s_mov_b32 s6, 0xb461b8d2
	v_pk_mul_f16 v5, v65, s7
	s_mov_b32 s7, 0xb836bbb2
	v_pk_add_f16 v4, v4, v11 neg_lo:[0,1] neg_hi:[0,1]
	v_bfi_b32 v11, s0, v62, v18
	v_bfi_b32 v18, s0, v60, v24
	v_pk_fma_f16 v5, v63, s6, v5
	s_mov_b32 s6, 0xbacdb461
	v_pk_mul_f16 v53, v69, s7
	v_pk_add_f16 v4, v66, v4
	v_pk_add_f16 v11, v11, v18 neg_lo:[0,1] neg_hi:[0,1]
	v_pk_add_f16 v5, v66, v5
	v_pk_fma_f16 v53, v67, s6, v53
	s_mov_b32 s7, 0xb96435c8
	v_pk_add_f16 v4, v4, v11
	v_bfi_b32 v11, s0, v89, v25
	v_bfi_b32 v18, s0, v58, v26
	v_pk_add_f16 v5, v5, v53
	s_mov_b32 s6, 0x39e93b76
	v_pk_mul_f16 v53, v72, s7
	v_pk_add_f16 v11, v11, v18 neg_lo:[0,1] neg_hi:[0,1]
	v_pk_fma_f16 v53, v70, s6, v53
	s_mov_b32 s7, 0x3b293836
	v_pk_add_f16 v4, v4, v11
	v_bfi_b32 v11, s0, v91, v30
	v_bfi_b32 v18, s0, v56, v41
	v_pk_add_f16 v5, v5, v53
	s_mov_b32 s6, 0x3722bacd
	v_pk_mul_f16 v53, v75, s7
	v_pk_add_f16 v11, v11, v18 neg_lo:[0,1] neg_hi:[0,1]
	;; [unrolled: 9-line block ×4, first 2 shown]
	v_pk_fma_f16 v53, v79, s6, v53
	s_mov_b32 s7, 0x35c831e1
	v_pk_add_f16 v4, v4, v11
	v_bfi_b32 v11, s0, v97, v46
	v_bfi_b32 v18, s0, v50, v47
	s_movk_i32 s1, 0x2de8
	v_pk_add_f16 v5, v5, v53
	s_mov_b32 s6, 0x3b76bbdd
	v_pk_mul_f16 v53, v84, s7
	v_pk_add_f16 v17, v17, v51
	v_mul_f16_e32 v51, 0x2de8, v1
	v_mul_f16_e32 v2, 0x3bf7, v2
	v_pk_add_f16 v11, v11, v18 neg_lo:[0,1] neg_hi:[0,1]
	v_pk_fma_f16 v53, v82, s6, v53
	s_mov_b32 s7, 0x3a62bb29
	v_fma_f16 v1, v1, s1, v2
	v_pk_add_f16 v4, v4, v11
	v_bfi_b32 v11, s0, v51, v48
	v_bfi_b32 v2, s0, v2, v49
	v_pk_add_f16 v5, v5, v53
	s_mov_b32 s6, 0xb8d23722
	v_pk_mul_f16 v53, v87, s7
	v_pk_add_f16 v2, v11, v2 neg_lo:[0,1] neg_hi:[0,1]
	v_pk_add_f16 v16, v16, v71
	v_pk_fma_f16 v53, v85, s6, v53
	v_pk_add_f16 v4, v4, v2
	v_lshl_add_u32 v2, v10, 5, v0
	v_pk_add_f16 v5, v5, v53
	v_add_f16_e32 v1, v29, v1
	ds_write_b128 v2, v[14:17]
	ds_write_b16 v2, v1 offset:16
	ds_write_b128 v2, v[4:7] offset:18
.LBB0_15:
	s_or_b64 exec, exec, s[2:3]
	v_add_u32_e32 v2, 0x66, v10
	s_movk_i32 s0, 0xf1
	v_mul_lo_u16_sdwa v5, v10, s0 dst_sel:DWORD dst_unused:UNUSED_PAD src0_sel:BYTE_0 src1_sel:DWORD
	v_mul_lo_u16_sdwa v14, v2, s0 dst_sel:DWORD dst_unused:UNUSED_PAD src0_sel:BYTE_0 src1_sel:DWORD
	v_lshrrev_b16_e32 v11, 12, v5
	v_lshrrev_b16_e32 v53, 12, v14
	v_add_u32_e32 v1, 0xcc, v10
	v_mul_lo_u16_e32 v5, 17, v11
	v_mul_lo_u16_e32 v14, 17, v53
	s_mov_b32 s0, 0xf0f1
	v_sub_u16_e32 v28, v10, v5
	v_mov_b32_e32 v5, 3
	v_sub_u16_e32 v41, v2, v14
	v_mul_u32_u24_sdwa v14, v1, s0 dst_sel:DWORD dst_unused:UNUSED_PAD src0_sel:WORD_0 src1_sel:DWORD
	v_lshlrev_b32_sdwa v6, v5, v28 dst_sel:DWORD dst_unused:UNUSED_PAD src0_sel:DWORD src1_sel:BYTE_0
	v_lshlrev_b32_sdwa v5, v5, v41 dst_sel:DWORD dst_unused:UNUSED_PAD src0_sel:DWORD src1_sel:BYTE_0
	v_lshrrev_b32_e32 v54, 20, v14
	s_load_dwordx2 s[4:5], s[4:5], 0x0
	v_add_u32_e32 v4, 0x132, v10
	s_waitcnt lgkmcnt(0)
	s_barrier
	global_load_dwordx2 v[15:16], v6, s[12:13]
	global_load_dwordx2 v[17:18], v5, s[12:13]
	v_mul_lo_u16_e32 v6, 17, v54
	v_sub_u16_e32 v42, v1, v6
	v_mul_u32_u24_sdwa v6, v4, s0 dst_sel:DWORD dst_unused:UNUSED_PAD src0_sel:WORD_0 src1_sel:DWORD
	v_lshlrev_b32_e32 v5, 3, v42
	v_lshrrev_b32_e32 v55, 20, v6
	global_load_dwordx2 v[24:25], v5, s[12:13]
	v_mul_lo_u16_e32 v5, 17, v55
	v_sub_u16_e32 v4, v4, v5
	v_lshlrev_b32_e32 v5, 3, v4
	global_load_dwordx2 v[26:27], v5, s[12:13]
	v_add_u32_e32 v5, 0x198, v10
	v_mul_u32_u24_sdwa v6, v5, s0 dst_sel:DWORD dst_unused:UNUSED_PAD src0_sel:WORD_0 src1_sel:DWORD
	v_lshrrev_b32_e32 v56, 20, v6
	v_mul_lo_u16_e32 v6, 17, v56
	v_sub_u16_e32 v57, v5, v6
	v_lshlrev_b32_e32 v5, 3, v57
	global_load_dwordx2 v[51:52], v5, s[12:13]
	ds_read_u16 v43, v0 offset:1224
	ds_read_u16 v44, v0 offset:1428
	ds_read_u16 v30, v0
	ds_read_u16 v29, v0 offset:204
	ds_read_u16 v14, v0 offset:408
	;; [unrolled: 1-line block ×12, first 2 shown]
	v_mov_b32_e32 v45, 1
	v_lshlrev_b32_e32 v65, 1, v4
	v_lshlrev_b32_sdwa v28, v45, v28 dst_sel:DWORD dst_unused:UNUSED_PAD src0_sel:DWORD src1_sel:BYTE_0
	v_lshlrev_b32_sdwa v63, v45, v41 dst_sel:DWORD dst_unused:UNUSED_PAD src0_sel:DWORD src1_sel:BYTE_0
	v_lshlrev_b32_e32 v64, 1, v42
	s_movk_i32 s6, 0x3aee
	s_mov_b32 s7, 0xbaee
	v_mul_u32_u24_e32 v11, 0x66, v11
	s_waitcnt vmcnt(0) lgkmcnt(0)
	s_barrier
	v_cmp_gt_u32_e64 s[0:1], 51, v10
	v_mul_f16_sdwa v4, v46, v15 dst_sel:DWORD dst_unused:UNUSED_PAD src0_sel:DWORD src1_sel:WORD_1
	v_fma_f16 v45, v39, v15, -v4
	v_mul_f16_sdwa v41, v39, v15 dst_sel:DWORD dst_unused:UNUSED_PAD src0_sel:DWORD src1_sel:WORD_1
	v_mul_f16_sdwa v42, v50, v16 dst_sel:DWORD dst_unused:UNUSED_PAD src0_sel:DWORD src1_sel:WORD_1
	v_mul_f16_sdwa v67, v43, v17 dst_sel:DWORD dst_unused:UNUSED_PAD src0_sel:DWORD src1_sel:WORD_1
	v_fma_f16 v47, v40, v16, -v42
	v_mul_f16_sdwa v66, v40, v16 dst_sel:DWORD dst_unused:UNUSED_PAD src0_sel:DWORD src1_sel:WORD_1
	v_mul_f16_sdwa v73, v59, v25 dst_sel:DWORD dst_unused:UNUSED_PAD src0_sel:DWORD src1_sel:WORD_1
	;; [unrolled: 4-line block ×3, first 2 shown]
	v_fma_f16 v37, v36, v27, -v4
	v_mul_f16_sdwa v4, v36, v27 dst_sel:DWORD dst_unused:UNUSED_PAD src0_sel:DWORD src1_sel:WORD_1
	v_fma_f16 v42, v60, v27, v4
	v_fma_f16 v40, v33, v17, -v67
	v_mul_f16_sdwa v69, v48, v18 dst_sel:DWORD dst_unused:UNUSED_PAD src0_sel:DWORD src1_sel:WORD_1
	v_mul_f16_sdwa v70, v38, v18 dst_sel:DWORD dst_unused:UNUSED_PAD src0_sel:DWORD src1_sel:WORD_1
	;; [unrolled: 1-line block ×3, first 2 shown]
	v_fma_f16 v33, v35, v51, -v4
	v_mul_f16_sdwa v4, v35, v51 dst_sel:DWORD dst_unused:UNUSED_PAD src0_sel:DWORD src1_sel:WORD_1
	v_fma_f16 v35, v62, v51, v4
	v_mul_f16_sdwa v4, v61, v52 dst_sel:DWORD dst_unused:UNUSED_PAD src0_sel:DWORD src1_sel:WORD_1
	v_fma_f16 v36, v31, v52, -v4
	v_mul_f16_sdwa v4, v31, v52 dst_sel:DWORD dst_unused:UNUSED_PAD src0_sel:DWORD src1_sel:WORD_1
	v_fma_f16 v31, v61, v52, v4
	v_add_f16_e32 v4, v23, v45
	v_fma_f16 v49, v46, v15, v41
	v_fma_f16 v50, v50, v16, v66
	;; [unrolled: 1-line block ×3, first 2 shown]
	v_fma_f16 v43, v38, v18, -v69
	v_fma_f16 v48, v48, v18, v70
	v_add_f16_e32 v18, v4, v47
	v_add_f16_e32 v4, v45, v47
	v_mul_f16_sdwa v71, v44, v24 dst_sel:DWORD dst_unused:UNUSED_PAD src0_sel:DWORD src1_sel:WORD_1
	v_mul_f16_sdwa v72, v32, v24 dst_sel:DWORD dst_unused:UNUSED_PAD src0_sel:DWORD src1_sel:WORD_1
	v_fma_f16 v4, v4, -0.5, v23
	v_sub_f16_e32 v15, v49, v50
	v_fma_f16 v38, v32, v24, -v71
	v_fma_f16 v41, v44, v24, v72
	v_fma_f16 v23, v15, s6, v4
	;; [unrolled: 1-line block ×3, first 2 shown]
	v_add_f16_e32 v4, v22, v40
	v_fma_f16 v44, v59, v25, v74
	v_add_f16_e32 v25, v4, v43
	v_add_f16_e32 v4, v40, v43
	v_mul_f16_sdwa v75, v58, v26 dst_sel:DWORD dst_unused:UNUSED_PAD src0_sel:DWORD src1_sel:WORD_1
	v_mul_f16_sdwa v76, v34, v26 dst_sel:DWORD dst_unused:UNUSED_PAD src0_sel:DWORD src1_sel:WORD_1
	v_fma_f16 v4, v4, -0.5, v22
	v_sub_f16_e32 v15, v46, v48
	v_fma_f16 v32, v34, v26, -v75
	v_fma_f16 v34, v58, v26, v76
	v_fma_f16 v22, v15, s6, v4
	;; [unrolled: 1-line block ×3, first 2 shown]
	v_add_f16_e32 v4, v21, v38
	v_add_f16_e32 v27, v4, v39
	;; [unrolled: 1-line block ×3, first 2 shown]
	v_fma_f16 v4, v4, -0.5, v21
	v_sub_f16_e32 v15, v41, v44
	v_lshlrev_b32_e32 v17, 1, v57
	v_fma_f16 v21, v15, s6, v4
	v_fma_f16 v57, v15, s7, v4
	v_add_f16_e32 v4, v20, v32
	v_add3_u32 v51, 0, v11, v28
	v_mul_u32_u24_e32 v11, 0x66, v53
	v_add_f16_e32 v58, v4, v37
	v_add_f16_e32 v4, v32, v37
	v_add3_u32 v52, 0, v11, v63
	v_mul_u32_u24_e32 v11, 0x66, v54
	v_fma_f16 v4, v4, -0.5, v20
	v_sub_f16_e32 v15, v34, v42
	v_add3_u32 v53, 0, v11, v64
	v_mul_u32_u24_e32 v11, 0x66, v55
	v_fma_f16 v20, v15, s6, v4
	v_fma_f16 v59, v15, s7, v4
	v_add_f16_e32 v4, v19, v33
	v_add_f16_e32 v15, v33, v36
	v_add3_u32 v54, 0, v11, v65
	v_mul_u32_u24_e32 v11, 0x66, v56
	v_add_f16_e32 v4, v4, v36
	v_fma_f16 v15, v15, -0.5, v19
	v_sub_f16_e32 v19, v35, v31
	v_add3_u32 v55, 0, v11, v17
	v_fma_f16 v16, v19, s6, v15
	v_fma_f16 v15, v19, s7, v15
	ds_write_b16 v51, v18
	ds_write_b16 v51, v23 offset:34
	ds_write_b16 v51, v24 offset:68
	ds_write_b16 v52, v25
	ds_write_b16 v52, v22 offset:34
	ds_write_b16 v52, v26 offset:68
	;; [unrolled: 3-line block ×5, first 2 shown]
	s_waitcnt lgkmcnt(0)
	s_barrier
	ds_read_u16 v17, v0
	ds_read_u16 v24, v0 offset:2040
	ds_read_u16 v18, v0 offset:1734
	;; [unrolled: 1-line block ×11, first 2 shown]
                                        ; implicit-def: $vgpr19
	s_and_saveexec_b64 s[2:3], s[0:1]
	s_cbranch_execz .LBB0_17
; %bb.16:
	ds_read_u16 v4, v0 offset:408
	ds_read_u16 v16, v0 offset:918
	;; [unrolled: 1-line block ×6, first 2 shown]
	s_mov_b32 s8, 0x5040100
	s_waitcnt lgkmcnt(1)
	v_perm_b32 v3, v56, v3, s8
.LBB0_17:
	s_or_b64 exec, exec, s[2:3]
	v_add_f16_e32 v56, v30, v49
	v_add_f16_e32 v49, v49, v50
	v_fma_f16 v30, v49, -0.5, v30
	v_sub_f16_e32 v45, v45, v47
	v_fma_f16 v47, v45, s7, v30
	v_fma_f16 v45, v45, s6, v30
	v_add_f16_e32 v30, v29, v46
	v_add_f16_e32 v49, v30, v48
	v_add_f16_e32 v30, v46, v48
	v_fma_f16 v29, v30, -0.5, v29
	v_sub_f16_e32 v30, v40, v43
	v_fma_f16 v40, v30, s7, v29
	v_fma_f16 v43, v30, s6, v29
	v_add_f16_e32 v29, v14, v41
	;; [unrolled: 7-line block ×3, first 2 shown]
	v_add_f16_e32 v41, v14, v42
	v_add_f16_e32 v14, v34, v42
	v_fma_f16 v6, v14, -0.5, v6
	v_sub_f16_e32 v14, v32, v37
	v_add_f16_e32 v29, v35, v31
	v_add_f16_e32 v56, v56, v50
	v_fma_f16 v32, v14, s7, v6
	v_fma_f16 v6, v14, s6, v6
	v_add_f16_e32 v14, v5, v35
	v_fma_f16 v5, v29, -0.5, v5
	v_sub_f16_e32 v29, v33, v36
	v_add_f16_e32 v14, v14, v31
	v_fma_f16 v30, v29, s7, v5
	v_fma_f16 v29, v29, s6, v5
	s_waitcnt lgkmcnt(0)
	s_barrier
	ds_write_b16 v51, v56
	ds_write_b16 v51, v47 offset:34
	ds_write_b16 v51, v45 offset:68
	ds_write_b16 v52, v49
	ds_write_b16 v52, v40 offset:34
	ds_write_b16 v52, v43 offset:68
	;; [unrolled: 3-line block ×5, first 2 shown]
	s_waitcnt lgkmcnt(0)
	s_barrier
	ds_read_u16 v6, v0
	ds_read_u16 v41, v0 offset:2040
	ds_read_u16 v31, v0 offset:1734
	;; [unrolled: 1-line block ×11, first 2 shown]
                                        ; implicit-def: $vgpr33
	s_and_saveexec_b64 s[2:3], s[0:1]
	s_cbranch_execz .LBB0_19
; %bb.18:
	ds_read_u16 v14, v0 offset:408
	ds_read_u16 v30, v0 offset:918
	;; [unrolled: 1-line block ×6, first 2 shown]
	s_mov_b32 s6, 0x5040100
	s_waitcnt lgkmcnt(1)
	v_perm_b32 v7, v36, v7, s6
.LBB0_19:
	s_or_b64 exec, exec, s[2:3]
	v_subrev_u32_e32 v36, 51, v10
	v_cndmask_b32_e64 v57, v36, v10, s[0:1]
	v_mul_i32_i24_e32 v42, 5, v57
	v_mov_b32_e32 v43, 0
	v_lshlrev_b64 v[42:43], 2, v[42:43]
	v_mov_b32_e32 v36, s13
	v_add_co_u32_e64 v42, s[2:3], s12, v42
	v_addc_co_u32_e64 v43, s[2:3], v36, v43, s[2:3]
	s_movk_i32 s2, 0xa1
	global_load_dwordx4 v[45:48], v[42:43], off offset:136
	global_load_dword v58, v[42:43], off offset:152
	v_mul_lo_u16_sdwa v42, v2, s2 dst_sel:DWORD dst_unused:UNUSED_PAD src0_sel:BYTE_0 src1_sel:DWORD
	v_lshrrev_b16_e32 v59, 13, v42
	v_mul_lo_u16_e32 v42, 51, v59
	s_mov_b32 s2, 0xa0a1
	v_sub_u16_e32 v60, v2, v42
	v_mul_u32_u24_sdwa v42, v1, s2 dst_sel:DWORD dst_unused:UNUSED_PAD src0_sel:WORD_0 src1_sel:DWORD
	v_lshrrev_b32_e32 v42, 21, v42
	v_mov_b32_e32 v36, 5
	v_mul_lo_u16_e32 v42, 51, v42
	v_mul_u32_u24_sdwa v36, v60, v36 dst_sel:DWORD dst_unused:UNUSED_PAD src0_sel:BYTE_0 src1_sel:DWORD
	v_sub_u16_e32 v61, v1, v42
	v_lshlrev_b32_e32 v36, 2, v36
	v_mul_u32_u24_e32 v42, 5, v61
	global_load_dwordx4 v[49:52], v36, s[12:13] offset:136
	global_load_dword v62, v36, s[12:13] offset:152
	v_lshlrev_b32_e32 v36, 2, v42
	global_load_dwordx4 v[53:56], v36, s[12:13] offset:136
	global_load_dword v63, v36, s[12:13] offset:152
	v_lshrrev_b32_e32 v64, 16, v3
	v_lshrrev_b32_e32 v65, 16, v7
	s_movk_i32 s7, 0x3aee
	s_mov_b32 s6, 0xbaee
	v_cmp_lt_u32_e64 s[2:3], 50, v10
	v_lshlrev_b32_e32 v57, 1, v57
	s_waitcnt vmcnt(0) lgkmcnt(0)
	s_barrier
	v_mul_f16_sdwa v36, v32, v45 dst_sel:DWORD dst_unused:UNUSED_PAD src0_sel:DWORD src1_sel:WORD_1
	v_mul_f16_sdwa v42, v28, v45 dst_sel:DWORD dst_unused:UNUSED_PAD src0_sel:DWORD src1_sel:WORD_1
	;; [unrolled: 1-line block ×10, first 2 shown]
	v_fma_f16 v73, v28, v45, -v36
	v_fma_f16 v32, v32, v45, v42
	v_fma_f16 v36, v26, v46, -v43
	v_fma_f16 v45, v25, v47, -v67
	v_fma_f16 v37, v37, v47, v68
	v_fma_f16 v42, v24, v48, -v69
	v_fma_f16 v47, v27, v58, -v71
	v_mul_f16_sdwa v26, v34, v50 dst_sel:DWORD dst_unused:UNUSED_PAD src0_sel:DWORD src1_sel:WORD_1
	v_mul_f16_sdwa v69, v29, v54 dst_sel:DWORD dst_unused:UNUSED_PAD src0_sel:DWORD src1_sel:WORD_1
	;; [unrolled: 1-line block ×3, first 2 shown]
	v_fma_f16 v40, v40, v46, v66
	v_fma_f16 v43, v41, v48, v70
	v_fma_f16 v41, v44, v58, v72
	v_mul_f16_sdwa v27, v20, v50 dst_sel:DWORD dst_unused:UNUSED_PAD src0_sel:DWORD src1_sel:WORD_1
	v_mul_f16_sdwa v46, v39, v52 dst_sel:DWORD dst_unused:UNUSED_PAD src0_sel:DWORD src1_sel:WORD_1
	;; [unrolled: 1-line block ×4, first 2 shown]
	v_fma_f16 v20, v20, v50, -v26
	v_fma_f16 v26, v15, v54, -v69
	;; [unrolled: 1-line block ×3, first 2 shown]
	v_mul_f16_sdwa v3, v33, v63 dst_sel:DWORD dst_unused:UNUSED_PAD src0_sel:DWORD src1_sel:WORD_1
	v_mul_f16_sdwa v24, v38, v49 dst_sel:DWORD dst_unused:UNUSED_PAD src0_sel:DWORD src1_sel:WORD_1
	;; [unrolled: 1-line block ×5, first 2 shown]
	v_fma_f16 v23, v23, v52, -v46
	v_fma_f16 v46, v19, v63, -v3
	v_mul_f16_sdwa v3, v19, v63 dst_sel:DWORD dst_unused:UNUSED_PAD src0_sel:DWORD src1_sel:WORD_1
	v_fma_f16 v76, v22, v49, -v24
	v_fma_f16 v22, v38, v49, v25
	v_fma_f16 v49, v18, v51, -v28
	v_fma_f16 v28, v33, v63, v3
	v_add_f16_e32 v3, v17, v36
	v_add_f16_e32 v33, v3, v42
	;; [unrolled: 1-line block ×3, first 2 shown]
	v_mul_f16_sdwa v44, v18, v51 dst_sel:DWORD dst_unused:UNUSED_PAD src0_sel:DWORD src1_sel:WORD_1
	v_mul_f16_sdwa v58, v35, v62 dst_sel:DWORD dst_unused:UNUSED_PAD src0_sel:DWORD src1_sel:WORD_1
	v_mul_f16_sdwa v66, v21, v62 dst_sel:DWORD dst_unused:UNUSED_PAD src0_sel:DWORD src1_sel:WORD_1
	v_fma_f16 v25, v7, v55, v72
	v_fma_f16 v3, v3, -0.5, v17
	v_sub_f16_e32 v7, v40, v43
	v_fma_f16 v18, v31, v51, v44
	v_fma_f16 v38, v39, v52, v48
	v_fma_f16 v31, v21, v62, -v58
	v_fma_f16 v21, v35, v62, v66
	v_fma_f16 v35, v7, s7, v3
	;; [unrolled: 1-line block ×3, first 2 shown]
	v_add_f16_e32 v3, v73, v45
	v_add_f16_e32 v44, v3, v47
	;; [unrolled: 1-line block ×3, first 2 shown]
	v_fma_f16 v3, v3, -0.5, v73
	v_sub_f16_e32 v17, v37, v41
	v_fma_f16 v7, v17, s7, v3
	v_fma_f16 v3, v17, s6, v3
	v_add_f16_e32 v17, v37, v41
	v_fma_f16 v17, v17, -0.5, v32
	v_sub_f16_e32 v45, v45, v47
	v_fma_f16 v19, v45, s6, v17
	v_fma_f16 v17, v45, s7, v17
	v_mul_f16_e32 v45, 0x3aee, v19
	v_mul_f16_sdwa v67, v30, v53 dst_sel:DWORD dst_unused:UNUSED_PAD src0_sel:DWORD src1_sel:WORD_1
	v_mul_f16_sdwa v68, v16, v53 dst_sel:DWORD dst_unused:UNUSED_PAD src0_sel:DWORD src1_sel:WORD_1
	v_fma_f16 v45, v7, 0.5, v45
	v_fma_f16 v34, v34, v50, v27
	v_fma_f16 v16, v16, v53, -v67
	v_fma_f16 v24, v30, v53, v68
	v_add_f16_e32 v51, v35, v45
	v_mul_f16_e32 v48, -0.5, v3
	v_sub_f16_e32 v53, v35, v45
	v_add_f16_e32 v35, v20, v23
	v_add_f16_e32 v47, v33, v44
	v_fma_f16 v48, v17, s7, v48
	v_sub_f16_e32 v44, v33, v44
	v_add_f16_e32 v33, v11, v20
	v_fma_f16 v11, v35, -0.5, v11
	v_sub_f16_e32 v35, v34, v38
	v_fma_f16 v27, v29, v54, v70
	v_add_f16_e32 v52, v39, v48
	v_sub_f16_e32 v54, v39, v48
	v_fma_f16 v39, v35, s7, v11
	v_fma_f16 v35, v35, s6, v11
	v_add_f16_e32 v11, v76, v49
	v_add_f16_e32 v45, v11, v31
	;; [unrolled: 1-line block ×3, first 2 shown]
	v_fma_f16 v11, v11, -0.5, v76
	v_sub_f16_e32 v50, v18, v21
	v_fma_f16 v48, v50, s7, v11
	v_fma_f16 v11, v50, s6, v11
	v_add_f16_e32 v50, v18, v21
	v_fma_f16 v55, v50, -0.5, v22
	v_sub_f16_e32 v31, v49, v31
	v_fma_f16 v50, v31, s6, v55
	v_fma_f16 v49, v31, s7, v55
	v_mul_f16_e32 v31, 0x3aee, v50
	v_mul_f16_sdwa v74, v65, v56 dst_sel:DWORD dst_unused:UNUSED_PAD src0_sel:DWORD src1_sel:WORD_1
	v_mul_f16_sdwa v75, v64, v56 dst_sel:DWORD dst_unused:UNUSED_PAD src0_sel:DWORD src1_sel:WORD_1
	v_fma_f16 v31, v48, 0.5, v31
	v_mul_f16_e32 v58, -0.5, v11
	v_fma_f16 v29, v64, v56, -v74
	v_fma_f16 v30, v65, v56, v75
	v_add_f16_e32 v56, v39, v31
	v_fma_f16 v58, v49, s7, v58
	v_sub_f16_e32 v64, v39, v31
	v_add_f16_e32 v31, v15, v46
	v_add_f16_e32 v33, v33, v23
	;; [unrolled: 1-line block ×3, first 2 shown]
	v_sub_f16_e32 v58, v35, v58
	v_fma_f16 v31, v31, -0.5, v16
	v_sub_f16_e32 v35, v25, v28
	v_add_f16_e32 v55, v33, v45
	v_sub_f16_e32 v63, v33, v45
	v_fma_f16 v33, v35, s7, v31
	v_fma_f16 v31, v35, s6, v31
	v_add_f16_e32 v35, v25, v28
	v_fma_f16 v35, v35, -0.5, v24
	v_sub_f16_e32 v45, v15, v46
	v_fma_f16 v39, v45, s6, v35
	v_fma_f16 v35, v45, s7, v35
	v_mov_b32_e32 v45, 0x264
	v_cndmask_b32_e64 v45, 0, v45, s[2:3]
	v_add3_u32 v45, 0, v45, v57
	ds_write_b16 v45, v47
	ds_write_b16 v45, v51 offset:102
	ds_write_b16 v45, v52 offset:204
	;; [unrolled: 1-line block ×5, first 2 shown]
	v_mov_b32_e32 v47, 1
	v_mul_u32_u24_e32 v44, 0x264, v59
	v_lshlrev_b32_sdwa v47, v47, v60 dst_sel:DWORD dst_unused:UNUSED_PAD src0_sel:DWORD src1_sel:BYTE_0
	v_add3_u32 v47, 0, v44, v47
	v_lshl_add_u32 v44, v61, 1, 0
	ds_write_b16 v47, v55
	ds_write_b16 v47, v56 offset:102
	ds_write_b16 v47, v62 offset:204
	;; [unrolled: 1-line block ×5, first 2 shown]
	s_and_saveexec_b64 s[2:3], s[0:1]
	s_cbranch_execz .LBB0_21
; %bb.20:
	v_add_f16_e32 v51, v26, v29
	v_fma_f16 v51, v51, -0.5, v4
	v_sub_f16_e32 v52, v27, v30
	v_add_f16_e32 v4, v4, v26
	v_add_f16_e32 v15, v16, v15
	v_fma_f16 v53, v52, s6, v51
	v_mul_f16_e32 v54, -0.5, v31
	v_fma_f16 v51, v52, s7, v51
	v_mul_f16_e32 v52, 0x3aee, v39
	v_add_f16_e32 v4, v4, v29
	v_add_f16_e32 v15, v15, v46
	v_fma_f16 v54, v35, s7, v54
	v_fma_f16 v52, v33, 0.5, v52
	v_sub_f16_e32 v16, v4, v15
	v_add_f16_e32 v4, v4, v15
	v_sub_f16_e32 v55, v53, v54
	v_sub_f16_e32 v56, v51, v52
	v_add_f16_e32 v46, v53, v54
	v_add_f16_e32 v51, v51, v52
	ds_write_b16 v44, v4 offset:2448
	ds_write_b16 v44, v51 offset:2550
	ds_write_b16 v44, v46 offset:2652
	ds_write_b16 v44, v16 offset:2754
	ds_write_b16 v44, v56 offset:2856
	ds_write_b16 v44, v55 offset:2958
.LBB0_21:
	s_or_b64 exec, exec, s[2:3]
	v_add_f16_e32 v15, v40, v43
	v_add_f16_e32 v4, v6, v40
	v_fma_f16 v6, v15, -0.5, v6
	v_sub_f16_e32 v15, v36, v42
	v_fma_f16 v16, v15, s6, v6
	v_fma_f16 v6, v15, s7, v6
	v_add_f16_e32 v15, v32, v37
	v_add_f16_e32 v4, v4, v43
	;; [unrolled: 1-line block ×3, first 2 shown]
	v_mul_f16_e32 v17, -0.5, v17
	v_add_f16_e32 v32, v4, v15
	v_mul_f16_e32 v7, 0xbaee, v7
	v_fma_f16 v3, v3, s6, v17
	v_sub_f16_e32 v40, v4, v15
	v_add_f16_e32 v4, v34, v38
	v_fma_f16 v7, v19, 0.5, v7
	v_add_f16_e32 v37, v6, v3
	v_sub_f16_e32 v42, v6, v3
	v_add_f16_e32 v3, v5, v34
	v_fma_f16 v4, v4, -0.5, v5
	v_sub_f16_e32 v5, v20, v23
	v_add_f16_e32 v36, v16, v7
	v_sub_f16_e32 v41, v16, v7
	v_fma_f16 v6, v5, s6, v4
	v_fma_f16 v4, v5, s7, v4
	v_add_f16_e32 v5, v22, v18
	v_mul_f16_e32 v7, 0xbaee, v48
	v_mul_f16_e32 v15, -0.5, v49
	v_add_f16_e32 v3, v3, v38
	v_add_f16_e32 v5, v5, v21
	v_fma_f16 v7, v50, 0.5, v7
	v_fma_f16 v11, v11, s6, v15
	v_add_f16_e32 v34, v3, v5
	v_add_f16_e32 v38, v6, v7
	;; [unrolled: 1-line block ×3, first 2 shown]
	v_sub_f16_e32 v46, v3, v5
	v_sub_f16_e32 v48, v6, v7
	;; [unrolled: 1-line block ×3, first 2 shown]
	s_waitcnt lgkmcnt(0)
	s_barrier
	ds_read_u16 v3, v0
	ds_read_u16 v11, v0 offset:204
	ds_read_u16 v17, v0 offset:816
	ds_read_u16 v16, v0 offset:1428
	ds_read_u16 v15, v0 offset:2040
	ds_read_u16 v5, v0 offset:1224
	ds_read_u16 v20, v0 offset:1020
	ds_read_u16 v4, v0 offset:612
	ds_read_u16 v19, v0 offset:408
	ds_read_u16 v18, v0 offset:2652
	ds_read_u16 v22, v0 offset:2856
	ds_read_u16 v6, v0 offset:2448
	ds_read_u16 v21, v0 offset:2244
	ds_read_u16 v7, v0 offset:1836
	ds_read_u16 v23, v0 offset:1632
	s_waitcnt lgkmcnt(0)
	s_barrier
	ds_write_b16 v45, v32
	ds_write_b16 v45, v36 offset:102
	ds_write_b16 v45, v37 offset:204
	;; [unrolled: 1-line block ×5, first 2 shown]
	ds_write_b16 v47, v34
	ds_write_b16 v47, v38 offset:102
	ds_write_b16 v47, v43 offset:204
	ds_write_b16 v47, v46 offset:306
	ds_write_b16 v47, v48 offset:408
	ds_write_b16 v47, v49 offset:510
	s_and_saveexec_b64 s[2:3], s[0:1]
	s_cbranch_execz .LBB0_23
; %bb.22:
	v_add_f16_e32 v32, v14, v27
	v_add_f16_e32 v27, v27, v30
	v_fma_f16 v14, v27, -0.5, v14
	v_sub_f16_e32 v26, v26, v29
	s_mov_b32 s0, 0xbaee
	s_movk_i32 s1, 0x3aee
	v_add_f16_e32 v24, v24, v25
	v_add_f16_e32 v32, v32, v30
	v_fma_f16 v27, v26, s0, v14
	v_fma_f16 v14, v26, s1, v14
	v_add_f16_e32 v24, v24, v28
	v_mul_f16_e32 v26, 0xbaee, v33
	v_mul_f16_e32 v29, -0.5, v35
	v_add_f16_e32 v25, v32, v24
	v_fma_f16 v26, v39, 0.5, v26
	v_fma_f16 v29, v31, s0, v29
	v_add_f16_e32 v28, v27, v26
	v_add_f16_e32 v30, v14, v29
	v_sub_f16_e32 v24, v32, v24
	v_sub_f16_e32 v26, v27, v26
	v_sub_f16_e32 v14, v14, v29
	ds_write_b16 v44, v25 offset:2448
	ds_write_b16 v44, v28 offset:2550
	;; [unrolled: 1-line block ×6, first 2 shown]
.LBB0_23:
	s_or_b64 exec, exec, s[2:3]
	s_waitcnt lgkmcnt(0)
	s_barrier
	s_and_saveexec_b64 s[0:1], vcc
	s_cbranch_execz .LBB0_25
; %bb.24:
	v_lshlrev_b32_e32 v32, 2, v1
	v_mov_b32_e32 v33, 0
	v_lshlrev_b64 v[24:25], 2, v[32:33]
	v_mov_b32_e32 v14, s13
	v_add_co_u32_e32 v24, vcc, s12, v24
	v_addc_co_u32_e32 v25, vcc, v14, v25, vcc
	global_load_dwordx4 v[24:27], v[24:25], off offset:1156
	v_lshlrev_b32_e32 v32, 2, v2
	v_mul_lo_u32 v30, s5, v12
	v_mul_lo_u32 v31, s4, v13
	v_mad_u64_u32 v[12:13], s[0:1], s4, v12, 0
	v_lshlrev_b64 v[28:29], 2, v[32:33]
	ds_read_u16 v34, v0 offset:1632
	v_add_co_u32_e32 v28, vcc, s12, v28
	v_addc_co_u32_e32 v29, vcc, v14, v29, vcc
	ds_read_u16 v35, v0 offset:1428
	ds_read_u16 v36, v0 offset:1224
	;; [unrolled: 1-line block ×13, first 2 shown]
	v_add3_u32 v13, v13, v31, v30
	global_load_dwordx4 v[28:31], v[28:29], off offset:1156
	s_mov_b32 s2, 0xbb9c
	s_movk_i32 s3, 0x3b9c
	s_movk_i32 s0, 0x38b4
	s_mov_b32 s4, 0xb8b4
	s_movk_i32 s1, 0x34f2
	ds_read_u16 v0, v0
	s_waitcnt vmcnt(1)
	v_mul_f16_sdwa v2, v23, v25 dst_sel:DWORD dst_unused:UNUSED_PAD src0_sel:DWORD src1_sel:WORD_1
	v_mul_f16_sdwa v32, v20, v24 dst_sel:DWORD dst_unused:UNUSED_PAD src0_sel:DWORD src1_sel:WORD_1
	;; [unrolled: 1-line block ×4, first 2 shown]
	s_waitcnt lgkmcnt(11)
	v_mul_f16_sdwa v50, v37, v24 dst_sel:DWORD dst_unused:UNUSED_PAD src0_sel:DWORD src1_sel:WORD_1
	s_waitcnt lgkmcnt(6)
	v_mul_f16_sdwa v51, v42, v27 dst_sel:DWORD dst_unused:UNUSED_PAD src0_sel:DWORD src1_sel:WORD_1
	v_mul_f16_sdwa v52, v34, v25 dst_sel:DWORD dst_unused:UNUSED_PAD src0_sel:DWORD src1_sel:WORD_1
	s_waitcnt lgkmcnt(3)
	v_mul_f16_sdwa v53, v45, v26 dst_sel:DWORD dst_unused:UNUSED_PAD src0_sel:DWORD src1_sel:WORD_1
	v_fma_f16 v2, v34, v25, v2
	v_fma_f16 v32, v37, v24, v32
	v_fma_f16 v34, v45, v26, v48
	v_fma_f16 v37, v42, v27, v49
	v_fma_f16 v24, v20, v24, -v50
	v_fma_f16 v27, v22, v27, -v51
	;; [unrolled: 1-line block ×4, first 2 shown]
	v_sub_f16_e32 v20, v2, v32
	v_sub_f16_e32 v21, v34, v37
	v_add_f16_e32 v23, v32, v37
	v_add_f16_e32 v49, v2, v34
	;; [unrolled: 1-line block ×3, first 2 shown]
	v_sub_f16_e32 v22, v24, v27
	v_sub_f16_e32 v42, v25, v26
	;; [unrolled: 1-line block ×4, first 2 shown]
	v_add_f16_e32 v53, v24, v27
	v_sub_f16_e32 v54, v2, v34
	v_add_f16_e32 v20, v20, v21
	v_fma_f16 v21, v23, -0.5, v40
	v_fma_f16 v40, v49, -0.5, v40
	v_add_f16_e32 v2, v2, v50
	v_add_f16_e32 v23, v45, v48
	v_fma_f16 v48, v53, -0.5, v19
	v_fma_f16 v49, v42, s2, v21
	v_fma_f16 v21, v42, s3, v21
	;; [unrolled: 1-line block ×4, first 2 shown]
	v_add_f16_e32 v2, v34, v2
	v_sub_f16_e32 v51, v25, v24
	v_sub_f16_e32 v52, v26, v27
	v_fma_f16 v34, v54, s3, v48
	v_fma_f16 v49, v22, s0, v49
	;; [unrolled: 1-line block ×5, first 2 shown]
	v_add_f16_e32 v42, v37, v2
	v_sub_f16_e32 v2, v32, v37
	v_add_f16_e32 v45, v51, v52
	v_fma_f16 v49, v20, s1, v49
	v_fma_f16 v50, v20, s1, v21
	;; [unrolled: 1-line block ×7, first 2 shown]
	v_sub_f16_e32 v20, v24, v25
	v_sub_f16_e32 v21, v27, v26
	v_add_f16_e32 v45, v20, v21
	v_add_f16_e32 v20, v25, v26
	v_fma_f16 v20, v20, -0.5, v19
	v_fma_f16 v21, v2, s2, v20
	v_fma_f16 v21, v54, s4, v21
	v_lshlrev_b32_e32 v32, 2, v10
	v_fma_f16 v48, v45, s1, v21
	v_fma_f16 v2, v2, s3, v20
	v_lshlrev_b64 v[20:21], 2, v[32:33]
	v_fma_f16 v51, v23, s1, v22
	v_add_co_u32_e32 v20, vcc, s12, v20
	v_addc_co_u32_e32 v21, vcc, v14, v21, vcc
	v_fma_f16 v40, v23, s1, v40
	global_load_dwordx4 v[20:23], v[20:21], off offset:1156
	v_fma_f16 v2, v54, s0, v2
	v_fma_f16 v14, v45, s1, v2
	v_add_f16_e32 v2, v19, v24
	v_add_f16_e32 v2, v25, v2
	;; [unrolled: 1-line block ×4, first 2 shown]
	s_waitcnt vmcnt(1)
	v_mul_f16_sdwa v2, v16, v29 dst_sel:DWORD dst_unused:UNUSED_PAD src0_sel:DWORD src1_sel:WORD_1
	v_mul_f16_sdwa v24, v17, v28 dst_sel:DWORD dst_unused:UNUSED_PAD src0_sel:DWORD src1_sel:WORD_1
	;; [unrolled: 1-line block ×4, first 2 shown]
	v_fma_f16 v2, v35, v29, v2
	v_fma_f16 v24, v38, v28, v24
	s_waitcnt lgkmcnt(2)
	v_fma_f16 v26, v46, v30, v26
	v_fma_f16 v27, v43, v31, v27
	v_sub_f16_e32 v25, v2, v24
	v_sub_f16_e32 v32, v26, v27
	v_add_f16_e32 v25, v25, v32
	v_mul_f16_sdwa v32, v38, v28 dst_sel:DWORD dst_unused:UNUSED_PAD src0_sel:DWORD src1_sel:WORD_1
	v_fma_f16 v17, v17, v28, -v32
	v_mul_f16_sdwa v32, v35, v29 dst_sel:DWORD dst_unused:UNUSED_PAD src0_sel:DWORD src1_sel:WORD_1
	v_mul_f16_sdwa v28, v43, v31 dst_sel:DWORD dst_unused:UNUSED_PAD src0_sel:DWORD src1_sel:WORD_1
	v_fma_f16 v16, v16, v29, -v32
	v_mul_f16_sdwa v29, v46, v30 dst_sel:DWORD dst_unused:UNUSED_PAD src0_sel:DWORD src1_sel:WORD_1
	v_fma_f16 v18, v18, v31, -v28
	v_add_f16_e32 v31, v24, v27
	v_fma_f16 v15, v15, v30, -v29
	v_fma_f16 v31, v31, -0.5, v41
	v_sub_f16_e32 v29, v16, v15
	v_sub_f16_e32 v32, v16, v17
	;; [unrolled: 1-line block ×4, first 2 shown]
	v_fma_f16 v30, v29, s2, v31
	v_add_f16_e32 v32, v32, v35
	v_add_f16_e32 v35, v17, v18
	v_fma_f16 v31, v29, s3, v31
	v_fma_f16 v30, v28, s0, v30
	v_fma_f16 v35, v35, -0.5, v11
	v_sub_f16_e32 v38, v2, v26
	v_fma_f16 v31, v28, s4, v31
	v_fma_f16 v30, v25, s1, v30
	v_fma_f16 v43, v38, s3, v35
	v_sub_f16_e32 v45, v24, v27
	v_fma_f16 v25, v25, s1, v31
	v_fma_f16 v31, v38, s2, v35
	;; [unrolled: 1-line block ×6, first 2 shown]
	v_sub_f16_e32 v32, v24, v2
	v_sub_f16_e32 v35, v27, v26
	v_add_f16_e32 v24, v24, v41
	v_add_f16_e32 v32, v32, v35
	;; [unrolled: 1-line block ×8, first 2 shown]
	v_fma_f16 v35, v35, -0.5, v41
	v_sub_f16_e32 v52, v17, v16
	v_sub_f16_e32 v53, v18, v15
	v_add_f16_e32 v2, v2, v15
	v_add_f16_e32 v52, v52, v53
	;; [unrolled: 1-line block ×4, first 2 shown]
	v_fma_f16 v2, v28, s3, v35
	v_fma_f16 v53, v53, -0.5, v11
	v_fma_f16 v2, v29, s0, v2
	v_fma_f16 v16, v32, s1, v2
	;; [unrolled: 1-line block ×11, first 2 shown]
	s_waitcnt vmcnt(0)
	v_mul_f16_sdwa v2, v4, v20 dst_sel:DWORD dst_unused:UNUSED_PAD src0_sel:DWORD src1_sel:WORD_1
	v_mul_f16_sdwa v11, v5, v21 dst_sel:DWORD dst_unused:UNUSED_PAD src0_sel:DWORD src1_sel:WORD_1
	v_mul_f16_sdwa v26, v6, v23 dst_sel:DWORD dst_unused:UNUSED_PAD src0_sel:DWORD src1_sel:WORD_1
	v_mul_f16_sdwa v27, v7, v22 dst_sel:DWORD dst_unused:UNUSED_PAD src0_sel:DWORD src1_sel:WORD_1
	v_fma_f16 v2, v39, v20, v2
	v_fma_f16 v11, v36, v21, v11
	;; [unrolled: 1-line block ×3, first 2 shown]
	s_waitcnt lgkmcnt(1)
	v_fma_f16 v27, v47, v22, v27
	v_sub_f16_e32 v18, v2, v11
	v_sub_f16_e32 v28, v26, v27
	v_add_f16_e32 v18, v18, v28
	v_mul_f16_sdwa v28, v36, v21 dst_sel:DWORD dst_unused:UNUSED_PAD src0_sel:DWORD src1_sel:WORD_1
	v_fma_f16 v5, v5, v21, -v28
	v_mul_f16_sdwa v21, v47, v22 dst_sel:DWORD dst_unused:UNUSED_PAD src0_sel:DWORD src1_sel:WORD_1
	v_fma_f16 v7, v7, v22, -v21
	v_mul_f16_sdwa v22, v39, v20 dst_sel:DWORD dst_unused:UNUSED_PAD src0_sel:DWORD src1_sel:WORD_1
	v_sub_f16_e32 v38, v11, v2
	v_sub_f16_e32 v39, v27, v26
	v_fma_f16 v4, v4, v20, -v22
	v_mul_f16_sdwa v20, v44, v23 dst_sel:DWORD dst_unused:UNUSED_PAD src0_sel:DWORD src1_sel:WORD_1
	v_add_f16_e32 v22, v11, v27
	v_add_f16_e32 v38, v38, v39
	;; [unrolled: 1-line block ×3, first 2 shown]
	v_fma_f16 v6, v6, v23, -v20
	s_waitcnt lgkmcnt(0)
	v_fma_f16 v22, v22, -0.5, v0
	v_sub_f16_e32 v32, v2, v26
	v_fma_f16 v39, v39, -0.5, v0
	v_add_f16_e32 v0, v2, v0
	v_add_f16_e32 v2, v3, v4
	v_sub_f16_e32 v28, v4, v5
	v_sub_f16_e32 v29, v6, v7
	;; [unrolled: 1-line block ×4, first 2 shown]
	v_add_f16_e32 v2, v2, v5
	v_add_f16_e32 v28, v28, v29
	;; [unrolled: 1-line block ×6, first 2 shown]
	v_sub_f16_e32 v20, v4, v6
	v_fma_f16 v29, v29, -0.5, v3
	v_fma_f16 v45, v45, -0.5, v3
	v_add_f16_e32 v4, v6, v2
	v_lshlrev_b64 v[2:3], 2, v[12:13]
	v_sub_f16_e32 v21, v5, v7
	v_mov_b32_e32 v5, s11
	v_add_co_u32_e32 v6, vcc, s10, v2
	v_addc_co_u32_e32 v5, vcc, v5, v3, vcc
	v_lshlrev_b64 v[2:3], 2, v[8:9]
	v_fma_f16 v41, v21, s2, v39
	v_fma_f16 v39, v21, s3, v39
	;; [unrolled: 1-line block ×3, first 2 shown]
	v_sub_f16_e32 v36, v11, v27
	v_fma_f16 v41, v20, s0, v41
	v_fma_f16 v39, v20, s4, v39
	;; [unrolled: 1-line block ×3, first 2 shown]
	v_add_f16_e32 v0, v11, v0
	v_mov_b32_e32 v11, v33
	v_add_co_u32_e32 v6, vcc, v6, v2
	v_fma_f16 v23, v21, s0, v23
	v_fma_f16 v20, v21, s4, v20
	v_addc_co_u32_e32 v5, vcc, v5, v3, vcc
	v_lshlrev_b64 v[2:3], 2, v[10:11]
	v_fma_f16 v23, v18, s1, v23
	v_fma_f16 v18, v18, s1, v20
	;; [unrolled: 1-line block ×3, first 2 shown]
	v_add_f16_e32 v0, v27, v0
	v_fma_f16 v41, v38, s1, v41
	v_fma_f16 v38, v38, s1, v39
	v_fma_f16 v39, v36, s2, v45
	v_fma_f16 v20, v36, s0, v20
	v_add_f16_e32 v0, v26, v0
	v_add_co_u32_e32 v2, vcc, v6, v2
	v_fma_f16 v47, v36, s3, v45
	v_fma_f16 v39, v32, s0, v39
	;; [unrolled: 1-line block ×3, first 2 shown]
	v_addc_co_u32_e32 v3, vcc, v5, v3, vcc
	v_pack_b32_f16 v0, v4, v0
	v_fma_f16 v35, v32, s2, v29
	v_fma_f16 v47, v32, s4, v47
	;; [unrolled: 1-line block ×3, first 2 shown]
	global_store_dword v[2:3], v0, off
	v_pack_b32_f16 v0, v20, v18
	v_fma_f16 v35, v36, s4, v35
	v_fma_f16 v47, v44, s1, v47
	global_store_dword v[2:3], v0, off offset:1224
	v_pack_b32_f16 v0, v39, v38
	s_movk_i32 s0, 0x1000
	v_fma_f16 v35, v28, s1, v35
	global_store_dword v[2:3], v0, off offset:2448
	v_pack_b32_f16 v0, v47, v41
	v_add_co_u32_e32 v4, vcc, s0, v2
	global_store_dword v[2:3], v0, off offset:3672
	v_pack_b32_f16 v0, v35, v23
	v_addc_co_u32_e32 v5, vcc, 0, v3, vcc
	global_store_dword v[4:5], v0, off offset:800
	v_pack_b32_f16 v0, v15, v24
	s_mov_b32 s0, 0xd62b80d7
	global_store_dword v[2:3], v0, off offset:408
	v_pack_b32_f16 v0, v54, v46
	v_mul_hi_u32 v1, v1, s0
	global_store_dword v[2:3], v0, off offset:1632
	v_pack_b32_f16 v0, v31, v25
	global_store_dword v[2:3], v0, off offset:2856
	v_pack_b32_f16 v0, v43, v30
	;; [unrolled: 2-line block ×3, first 2 shown]
	global_store_dword v[4:5], v0, off offset:1208
	v_lshrrev_b32_e32 v0, 8, v1
	v_mul_u32_u24_e32 v32, 0x4c8, v0
	v_lshlrev_b64 v[0:1], 2, v[32:33]
	v_pack_b32_f16 v4, v19, v42
	v_add_co_u32_e32 v0, vcc, v2, v0
	v_addc_co_u32_e32 v1, vcc, v3, v1, vcc
	v_add_co_u32_e32 v2, vcc, 0x330, v0
	global_store_dword v[0:1], v4, off offset:816
	v_pack_b32_f16 v4, v14, v40
	v_addc_co_u32_e32 v3, vcc, 0, v1, vcc
	global_store_dword v[0:1], v4, off offset:2040
	v_pack_b32_f16 v4, v37, v50
	global_store_dword v[0:1], v4, off offset:3264
	v_pack_b32_f16 v4, v34, v49
	v_add_co_u32_e32 v0, vcc, 0x1000, v0
	global_store_dword v[2:3], v4, off offset:3672
	v_pack_b32_f16 v2, v48, v51
	v_addc_co_u32_e32 v1, vcc, 0, v1, vcc
	global_store_dword v[0:1], v2, off offset:1616
.LBB0_25:
	s_endpgm
	.section	.rodata,"a",@progbits
	.p2align	6, 0x0
	.amdhsa_kernel fft_rtc_fwd_len1530_factors_17_3_6_5_wgs_102_tpt_102_halfLds_half_op_CI_CI_unitstride_sbrr_dirReg
		.amdhsa_group_segment_fixed_size 0
		.amdhsa_private_segment_fixed_size 0
		.amdhsa_kernarg_size 104
		.amdhsa_user_sgpr_count 6
		.amdhsa_user_sgpr_private_segment_buffer 1
		.amdhsa_user_sgpr_dispatch_ptr 0
		.amdhsa_user_sgpr_queue_ptr 0
		.amdhsa_user_sgpr_kernarg_segment_ptr 1
		.amdhsa_user_sgpr_dispatch_id 0
		.amdhsa_user_sgpr_flat_scratch_init 0
		.amdhsa_user_sgpr_private_segment_size 0
		.amdhsa_uses_dynamic_stack 0
		.amdhsa_system_sgpr_private_segment_wavefront_offset 0
		.amdhsa_system_sgpr_workgroup_id_x 1
		.amdhsa_system_sgpr_workgroup_id_y 0
		.amdhsa_system_sgpr_workgroup_id_z 0
		.amdhsa_system_sgpr_workgroup_info 0
		.amdhsa_system_vgpr_workitem_id 0
		.amdhsa_next_free_vgpr 103
		.amdhsa_next_free_sgpr 51
		.amdhsa_reserve_vcc 1
		.amdhsa_reserve_flat_scratch 0
		.amdhsa_float_round_mode_32 0
		.amdhsa_float_round_mode_16_64 0
		.amdhsa_float_denorm_mode_32 3
		.amdhsa_float_denorm_mode_16_64 3
		.amdhsa_dx10_clamp 1
		.amdhsa_ieee_mode 1
		.amdhsa_fp16_overflow 0
		.amdhsa_exception_fp_ieee_invalid_op 0
		.amdhsa_exception_fp_denorm_src 0
		.amdhsa_exception_fp_ieee_div_zero 0
		.amdhsa_exception_fp_ieee_overflow 0
		.amdhsa_exception_fp_ieee_underflow 0
		.amdhsa_exception_fp_ieee_inexact 0
		.amdhsa_exception_int_div_zero 0
	.end_amdhsa_kernel
	.text
.Lfunc_end0:
	.size	fft_rtc_fwd_len1530_factors_17_3_6_5_wgs_102_tpt_102_halfLds_half_op_CI_CI_unitstride_sbrr_dirReg, .Lfunc_end0-fft_rtc_fwd_len1530_factors_17_3_6_5_wgs_102_tpt_102_halfLds_half_op_CI_CI_unitstride_sbrr_dirReg
                                        ; -- End function
	.section	.AMDGPU.csdata,"",@progbits
; Kernel info:
; codeLenInByte = 12832
; NumSgprs: 55
; NumVgprs: 103
; ScratchSize: 0
; MemoryBound: 0
; FloatMode: 240
; IeeeMode: 1
; LDSByteSize: 0 bytes/workgroup (compile time only)
; SGPRBlocks: 6
; VGPRBlocks: 25
; NumSGPRsForWavesPerEU: 55
; NumVGPRsForWavesPerEU: 103
; Occupancy: 2
; WaveLimiterHint : 1
; COMPUTE_PGM_RSRC2:SCRATCH_EN: 0
; COMPUTE_PGM_RSRC2:USER_SGPR: 6
; COMPUTE_PGM_RSRC2:TRAP_HANDLER: 0
; COMPUTE_PGM_RSRC2:TGID_X_EN: 1
; COMPUTE_PGM_RSRC2:TGID_Y_EN: 0
; COMPUTE_PGM_RSRC2:TGID_Z_EN: 0
; COMPUTE_PGM_RSRC2:TIDIG_COMP_CNT: 0
	.type	__hip_cuid_d7730612c6ad01ed,@object ; @__hip_cuid_d7730612c6ad01ed
	.section	.bss,"aw",@nobits
	.globl	__hip_cuid_d7730612c6ad01ed
__hip_cuid_d7730612c6ad01ed:
	.byte	0                               ; 0x0
	.size	__hip_cuid_d7730612c6ad01ed, 1

	.ident	"AMD clang version 19.0.0git (https://github.com/RadeonOpenCompute/llvm-project roc-6.4.0 25133 c7fe45cf4b819c5991fe208aaa96edf142730f1d)"
	.section	".note.GNU-stack","",@progbits
	.addrsig
	.addrsig_sym __hip_cuid_d7730612c6ad01ed
	.amdgpu_metadata
---
amdhsa.kernels:
  - .args:
      - .actual_access:  read_only
        .address_space:  global
        .offset:         0
        .size:           8
        .value_kind:     global_buffer
      - .offset:         8
        .size:           8
        .value_kind:     by_value
      - .actual_access:  read_only
        .address_space:  global
        .offset:         16
        .size:           8
        .value_kind:     global_buffer
      - .actual_access:  read_only
        .address_space:  global
        .offset:         24
        .size:           8
        .value_kind:     global_buffer
      - .actual_access:  read_only
        .address_space:  global
        .offset:         32
        .size:           8
        .value_kind:     global_buffer
      - .offset:         40
        .size:           8
        .value_kind:     by_value
      - .actual_access:  read_only
        .address_space:  global
        .offset:         48
        .size:           8
        .value_kind:     global_buffer
      - .actual_access:  read_only
        .address_space:  global
        .offset:         56
        .size:           8
        .value_kind:     global_buffer
      - .offset:         64
        .size:           4
        .value_kind:     by_value
      - .actual_access:  read_only
        .address_space:  global
        .offset:         72
        .size:           8
        .value_kind:     global_buffer
      - .actual_access:  read_only
        .address_space:  global
        .offset:         80
        .size:           8
        .value_kind:     global_buffer
      - .actual_access:  read_only
        .address_space:  global
        .offset:         88
        .size:           8
        .value_kind:     global_buffer
      - .actual_access:  write_only
        .address_space:  global
        .offset:         96
        .size:           8
        .value_kind:     global_buffer
    .group_segment_fixed_size: 0
    .kernarg_segment_align: 8
    .kernarg_segment_size: 104
    .language:       OpenCL C
    .language_version:
      - 2
      - 0
    .max_flat_workgroup_size: 102
    .name:           fft_rtc_fwd_len1530_factors_17_3_6_5_wgs_102_tpt_102_halfLds_half_op_CI_CI_unitstride_sbrr_dirReg
    .private_segment_fixed_size: 0
    .sgpr_count:     55
    .sgpr_spill_count: 0
    .symbol:         fft_rtc_fwd_len1530_factors_17_3_6_5_wgs_102_tpt_102_halfLds_half_op_CI_CI_unitstride_sbrr_dirReg.kd
    .uniform_work_group_size: 1
    .uses_dynamic_stack: false
    .vgpr_count:     103
    .vgpr_spill_count: 0
    .wavefront_size: 64
amdhsa.target:   amdgcn-amd-amdhsa--gfx906
amdhsa.version:
  - 1
  - 2
...

	.end_amdgpu_metadata
